;; amdgpu-corpus repo=ROCm/rocFFT kind=compiled arch=gfx1030 opt=O3
	.text
	.amdgcn_target "amdgcn-amd-amdhsa--gfx1030"
	.amdhsa_code_object_version 6
	.protected	bluestein_single_fwd_len1755_dim1_sp_op_CI_CI ; -- Begin function bluestein_single_fwd_len1755_dim1_sp_op_CI_CI
	.globl	bluestein_single_fwd_len1755_dim1_sp_op_CI_CI
	.p2align	8
	.type	bluestein_single_fwd_len1755_dim1_sp_op_CI_CI,@function
bluestein_single_fwd_len1755_dim1_sp_op_CI_CI: ; @bluestein_single_fwd_len1755_dim1_sp_op_CI_CI
; %bb.0:
	s_load_dwordx4 s[12:15], s[4:5], 0x28
	v_mul_u32_u24_e32 v1, 0x231, v0
	v_mov_b32_e32 v143, 0
	s_mov_b32 s0, exec_lo
	v_lshrrev_b32_e32 v1, 16, v1
	v_add_nc_u32_e32 v142, s6, v1
	s_waitcnt lgkmcnt(0)
	v_cmpx_gt_u64_e64 s[12:13], v[142:143]
	s_cbranch_execz .LBB0_15
; %bb.1:
	s_clause 0x1
	s_load_dwordx4 s[8:11], s[4:5], 0x18
	s_load_dwordx2 s[6:7], s[4:5], 0x0
	v_mul_lo_u16 v1, 0x75, v1
	v_sub_nc_u16 v36, v0, v1
	v_and_b32_e32 v174, 0xffff, v36
	v_lshlrev_b32_e32 v173, 3, v174
	s_waitcnt lgkmcnt(0)
	s_load_dwordx4 s[0:3], s[8:9], 0x0
	s_clause 0x1
	global_load_dwordx2 v[155:156], v173, s[6:7]
	global_load_dwordx2 v[157:158], v173, s[6:7] offset:1080
	v_add_co_u32 v138, s8, s6, v173
	v_add_co_ci_u32_e64 v139, null, s7, 0, s8
	v_add_co_u32 v140, vcc_lo, 0x800, v138
	v_add_co_ci_u32_e32 v141, vcc_lo, 0, v139, vcc_lo
	v_add_co_u32 v136, vcc_lo, 0x1000, v138
	v_add_co_ci_u32_e32 v137, vcc_lo, 0, v139, vcc_lo
	;; [unrolled: 2-line block ×3, first 2 shown]
	s_waitcnt lgkmcnt(0)
	v_mad_u64_u32 v[0:1], null, s2, v142, 0
	v_mad_u64_u32 v[2:3], null, s0, v174, 0
	v_add_co_u32 v132, vcc_lo, 0x2000, v138
	v_add_co_ci_u32_e32 v133, vcc_lo, 0, v139, vcc_lo
	v_add_co_u32 v130, vcc_lo, 0x2800, v138
	v_mad_u64_u32 v[4:5], null, s3, v142, v[1:2]
	v_add_co_ci_u32_e32 v131, vcc_lo, 0, v139, vcc_lo
	v_add_co_u32 v128, vcc_lo, 0x3000, v138
	v_add_co_ci_u32_e32 v129, vcc_lo, 0, v139, vcc_lo
	v_mad_u64_u32 v[5:6], null, s1, v174, v[3:4]
	v_mov_b32_e32 v1, v4
	s_mul_i32 s3, s1, 0x87
	s_mul_hi_u32 s6, s0, 0x87
	s_mul_i32 s2, s0, 0x87
	s_add_i32 s3, s6, s3
	v_lshlrev_b64 v[0:1], 3, v[0:1]
	v_mov_b32_e32 v3, v5
	s_lshl_b64 s[6:7], s[2:3], 3
	s_clause 0x8
	global_load_dwordx2 v[167:168], v[140:141], off offset:112
	global_load_dwordx2 v[165:166], v[140:141], off offset:1192
	;; [unrolled: 1-line block ×9, first 2 shown]
	v_lshlrev_b64 v[2:3], 3, v[2:3]
	v_add_co_u32 v0, vcc_lo, s14, v0
	v_add_co_ci_u32_e32 v1, vcc_lo, s15, v1, vcc_lo
	v_add_co_u32 v0, vcc_lo, v0, v2
	v_add_co_ci_u32_e32 v1, vcc_lo, v1, v3, vcc_lo
	;; [unrolled: 2-line block ×3, first 2 shown]
	s_clause 0x1
	global_load_dwordx2 v[8:9], v[0:1], off
	global_load_dwordx2 v[10:11], v[2:3], off
	v_add_co_u32 v4, vcc_lo, v2, s6
	v_add_co_ci_u32_e32 v5, vcc_lo, s7, v3, vcc_lo
	v_add_co_u32 v6, vcc_lo, v4, s6
	v_add_co_ci_u32_e32 v7, vcc_lo, s7, v5, vcc_lo
	s_clause 0x1
	global_load_dwordx2 v[12:13], v[4:5], off
	global_load_dwordx2 v[14:15], v[6:7], off
	v_add_co_u32 v0, vcc_lo, v6, s6
	v_add_co_ci_u32_e32 v1, vcc_lo, s7, v7, vcc_lo
	v_add_nc_u32_e32 v5, 0x800, v173
	v_add_co_u32 v2, vcc_lo, v0, s6
	v_add_co_ci_u32_e32 v3, vcc_lo, s7, v1, vcc_lo
	global_load_dwordx2 v[16:17], v[0:1], off
	v_add_co_u32 v0, vcc_lo, v2, s6
	v_add_co_ci_u32_e32 v1, vcc_lo, s7, v3, vcc_lo
	global_load_dwordx2 v[18:19], v[2:3], off
	;; [unrolled: 3-line block ×8, first 2 shown]
	s_clause 0x1
	global_load_dwordx2 v[149:150], v[130:131], off offset:1640
	global_load_dwordx2 v[151:152], v[128:129], off offset:672
	global_load_dwordx2 v[32:33], v[0:1], off
	s_load_dwordx2 s[2:3], s[4:5], 0x38
	s_load_dwordx4 s[8:11], s[10:11], 0x0
	v_add_nc_u32_e32 v3, 0x1000, v173
	v_add_nc_u32_e32 v2, 0x1800, v173
	;; [unrolled: 1-line block ×3, first 2 shown]
	v_cmp_gt_u16_e32 vcc_lo, 18, v36
	s_waitcnt vmcnt(14)
	v_mul_f32_e32 v7, v9, v156
	v_mul_f32_e32 v6, v8, v156
	s_waitcnt vmcnt(13)
	v_mul_f32_e32 v34, v11, v158
	v_mul_f32_e32 v35, v10, v158
	v_fmac_f32_e32 v7, v8, v155
	v_fma_f32 v8, v9, v155, -v6
	v_fmac_f32_e32 v34, v10, v157
	v_fma_f32 v35, v11, v157, -v35
	v_add_nc_u32_e32 v6, 0x2800, v173
	s_waitcnt vmcnt(12)
	v_mul_f32_e32 v10, v12, v168
	s_waitcnt vmcnt(11)
	v_mul_f32_e32 v11, v15, v166
	v_mul_f32_e32 v9, v13, v168
	ds_write2_b64 v173, v[7:8], v[34:35] offset1:135
	v_mul_f32_e32 v8, v14, v166
	v_fma_f32 v10, v13, v167, -v10
	v_fmac_f32_e32 v11, v14, v165
	v_fmac_f32_e32 v9, v12, v167
	v_fma_f32 v12, v15, v165, -v8
	s_waitcnt vmcnt(10)
	v_mul_f32_e32 v7, v17, v164
	v_mul_f32_e32 v14, v16, v164
	ds_write2_b64 v5, v[9:10], v[11:12] offset0:14 offset1:149
	s_waitcnt vmcnt(9)
	v_mul_f32_e32 v13, v19, v160
	v_mul_f32_e32 v34, v18, v160
	v_fmac_f32_e32 v7, v16, v163
	v_fma_f32 v8, v17, v163, -v14
	v_fmac_f32_e32 v13, v18, v159
	v_fma_f32 v14, v19, v159, -v34
	s_waitcnt vmcnt(8)
	v_mul_f32_e32 v9, v21, v162
	v_mul_f32_e32 v10, v20, v162
	s_waitcnt vmcnt(7)
	v_mul_f32_e32 v11, v23, v154
	ds_write2_b64 v3, v[7:8], v[13:14] offset0:28 offset1:163
	v_mul_f32_e32 v8, v22, v154
	v_fmac_f32_e32 v9, v20, v161
	v_fma_f32 v10, v21, v161, -v10
	s_waitcnt vmcnt(6)
	v_mul_f32_e32 v7, v25, v148
	v_fmac_f32_e32 v11, v22, v153
	v_fma_f32 v12, v23, v153, -v8
	v_mul_f32_e32 v8, v24, v148
	s_waitcnt vmcnt(5)
	v_mul_f32_e32 v13, v27, v146
	v_mul_f32_e32 v14, v26, v146
	v_fmac_f32_e32 v7, v24, v147
	v_fma_f32 v8, v25, v147, -v8
	s_waitcnt vmcnt(4)
	v_mul_f32_e32 v15, v29, v144
	v_mul_f32_e32 v16, v28, v144
	v_fmac_f32_e32 v13, v26, v145
	s_waitcnt vmcnt(2)
	v_mul_f32_e32 v17, v31, v150
	v_mul_f32_e32 v18, v30, v150
	s_waitcnt vmcnt(0)
	v_mul_f32_e32 v19, v33, v152
	v_mul_f32_e32 v20, v32, v152
	v_fma_f32 v14, v27, v145, -v14
	v_fmac_f32_e32 v15, v28, v143
	v_fma_f32 v16, v29, v143, -v16
	v_fmac_f32_e32 v17, v30, v149
	;; [unrolled: 2-line block ×3, first 2 shown]
	v_fma_f32 v20, v33, v151, -v20
	ds_write2_b64 v2, v[9:10], v[11:12] offset0:42 offset1:177
	ds_write2_b64 v4, v[7:8], v[13:14] offset0:56 offset1:191
	;; [unrolled: 1-line block ×3, first 2 shown]
	ds_write_b64 v173, v[19:20] offset:12960
	s_and_saveexec_b32 s12, vcc_lo
	s_cbranch_execz .LBB0_3
; %bb.2:
	v_mad_u64_u32 v[0:1], null, 0xffffd108, s0, v[0:1]
	s_mulk_i32 s1, 0xd108
	s_clause 0x1
	global_load_dwordx2 v[13:14], v[138:139], off offset:936
	global_load_dwordx2 v[15:16], v[138:139], off offset:2016
	s_sub_i32 s0, s1, s0
	v_add_nc_u32_e32 v59, 0xc00, v173
	v_add_nc_u32_e32 v60, 0x1400, v173
	;; [unrolled: 1-line block ×4, first 2 shown]
	v_add_co_u32 v7, s0, v0, s6
	v_add_nc_u32_e32 v62, 0x2400, v173
	v_add_nc_u32_e32 v63, 0x2c00, v173
	v_add_co_ci_u32_e64 v8, s0, s7, v1, s0
	v_add_co_u32 v9, s0, v7, s6
	global_load_dwordx2 v[0:1], v[0:1], off
	v_add_co_ci_u32_e64 v10, s0, s7, v8, s0
	v_add_co_u32 v11, s0, v9, s6
	v_add_co_ci_u32_e64 v12, s0, s7, v10, s0
	v_add_co_u32 v17, s0, v11, s6
	;; [unrolled: 2-line block ×3, first 2 shown]
	v_add_co_ci_u32_e64 v20, s0, s7, v18, s0
	global_load_dwordx2 v[7:8], v[7:8], off
	global_load_dwordx2 v[9:10], v[9:10], off
	;; [unrolled: 1-line block ×5, first 2 shown]
	v_add_co_u32 v19, s0, v19, s6
	v_add_co_ci_u32_e64 v20, s0, s7, v20, s0
	s_clause 0x3
	global_load_dwordx2 v[23:24], v[140:141], off offset:1048
	global_load_dwordx2 v[25:26], v[136:137], off offset:80
	;; [unrolled: 1-line block ×4, first 2 shown]
	v_add_co_u32 v31, s0, v19, s6
	v_add_co_ci_u32_e64 v32, s0, s7, v20, s0
	global_load_dwordx2 v[19:20], v[19:20], off
	v_add_co_u32 v33, s0, v31, s6
	v_add_co_ci_u32_e64 v34, s0, s7, v32, s0
	global_load_dwordx2 v[31:32], v[31:32], off
	v_add_co_u32 v35, s0, v33, s6
	v_add_co_ci_u32_e64 v36, s0, s7, v34, s0
	s_clause 0x1
	global_load_dwordx2 v[37:38], v[134:135], off offset:1272
	global_load_dwordx2 v[39:40], v[132:133], off offset:304
	v_add_co_u32 v41, s0, v35, s6
	v_add_co_ci_u32_e64 v42, s0, s7, v36, s0
	global_load_dwordx2 v[33:34], v[33:34], off
	global_load_dwordx2 v[35:36], v[35:36], off
	s_clause 0x1
	global_load_dwordx2 v[43:44], v[132:133], off offset:1384
	global_load_dwordx2 v[45:46], v[130:131], off offset:416
	global_load_dwordx2 v[47:48], v[41:42], off
	v_add_co_u32 v41, s0, v41, s6
	v_add_co_ci_u32_e64 v42, s0, s7, v42, s0
	global_load_dwordx2 v[49:50], v[130:131], off offset:1496
	v_add_co_u32 v51, s0, v41, s6
	v_add_co_ci_u32_e64 v52, s0, s7, v42, s0
	global_load_dwordx2 v[41:42], v[41:42], off
	s_clause 0x1
	global_load_dwordx2 v[53:54], v[128:129], off offset:528
	global_load_dwordx2 v[55:56], v[128:129], off offset:1608
	global_load_dwordx2 v[51:52], v[51:52], off
	s_waitcnt vmcnt(23)
	v_mul_f32_e32 v57, v1, v14
	v_mul_f32_e32 v58, v0, v14
	v_fmac_f32_e32 v57, v0, v13
	v_fma_f32 v58, v1, v13, -v58
	s_waitcnt vmcnt(22)
	v_mul_f32_e32 v14, v8, v16
	v_mul_f32_e32 v1, v7, v16
	v_fmac_f32_e32 v14, v7, v15
	s_waitcnt vmcnt(17)
	v_mul_f32_e32 v0, v10, v24
	v_mul_f32_e32 v13, v9, v24
	s_waitcnt vmcnt(16)
	v_mul_f32_e32 v7, v12, v26
	v_mul_f32_e32 v16, v11, v26
	v_fma_f32 v15, v8, v15, -v1
	v_fmac_f32_e32 v0, v9, v23
	v_fma_f32 v1, v10, v23, -v13
	v_fmac_f32_e32 v7, v11, v25
	v_fma_f32 v8, v12, v25, -v16
	ds_write2_b64 v173, v[57:58], v[14:15] offset0:117 offset1:252
	s_waitcnt vmcnt(15)
	v_mul_f32_e32 v9, v18, v28
	v_mul_f32_e32 v10, v17, v28
	s_waitcnt vmcnt(14)
	v_mul_f32_e32 v11, v22, v30
	ds_write2_b64 v59, v[0:1], v[7:8] offset0:3 offset1:138
	v_mul_f32_e32 v1, v21, v30
	v_fmac_f32_e32 v9, v17, v27
	v_fma_f32 v10, v18, v27, -v10
	s_waitcnt vmcnt(11)
	v_mul_f32_e32 v8, v19, v38
	s_waitcnt vmcnt(10)
	v_mul_f32_e32 v14, v31, v40
	v_mul_f32_e32 v0, v20, v38
	;; [unrolled: 1-line block ×3, first 2 shown]
	v_fma_f32 v12, v22, v29, -v1
	v_fma_f32 v1, v20, v37, -v8
	s_waitcnt vmcnt(7)
	v_mul_f32_e32 v13, v34, v44
	v_fma_f32 v8, v32, v39, -v14
	v_mul_f32_e32 v14, v33, v44
	s_waitcnt vmcnt(6)
	v_mul_f32_e32 v15, v36, v46
	v_mul_f32_e32 v16, v35, v46
	v_fmac_f32_e32 v0, v19, v37
	s_waitcnt vmcnt(4)
	v_mul_f32_e32 v17, v48, v50
	v_mul_f32_e32 v18, v47, v50
	s_waitcnt vmcnt(2)
	v_mul_f32_e32 v19, v42, v54
	v_mul_f32_e32 v20, v41, v54
	v_fmac_f32_e32 v11, v21, v29
	s_waitcnt vmcnt(0)
	v_mul_f32_e32 v21, v52, v56
	v_mul_f32_e32 v22, v51, v56
	v_fmac_f32_e32 v7, v31, v39
	v_fmac_f32_e32 v13, v33, v43
	v_fma_f32 v14, v34, v43, -v14
	v_fmac_f32_e32 v15, v35, v45
	v_fma_f32 v16, v36, v45, -v16
	;; [unrolled: 2-line block ×5, first 2 shown]
	ds_write2_b64 v60, v[9:10], v[11:12] offset0:17 offset1:152
	ds_write2_b64 v61, v[0:1], v[7:8] offset0:31 offset1:166
	;; [unrolled: 1-line block ×4, first 2 shown]
	ds_write_b64 v173, v[21:22] offset:13896
.LBB0_3:
	s_or_b32 exec_lo, exec_lo, s12
	s_waitcnt lgkmcnt(0)
	s_barrier
	buffer_gl0_inv
	ds_read2_b64 v[44:47], v173 offset1:135
	ds_read2_b64 v[36:39], v5 offset0:14 offset1:149
	ds_read2_b64 v[24:27], v3 offset0:28 offset1:163
	;; [unrolled: 1-line block ×5, first 2 shown]
	ds_read_b64 v[50:51], v173 offset:12960
	s_load_dwordx2 s[4:5], s[4:5], 0x8
	v_mov_b32_e32 v0, 0
	v_mov_b32_e32 v1, 0
                                        ; implicit-def: $vgpr14
                                        ; implicit-def: $vgpr8
                                        ; implicit-def: $vgpr4
                                        ; implicit-def: $vgpr48
                                        ; implicit-def: $vgpr18
                                        ; implicit-def: $vgpr34
	s_and_saveexec_b32 s0, vcc_lo
	s_cbranch_execz .LBB0_5
; %bb.4:
	v_add_nc_u32_e32 v4, 0xc00, v173
	v_add_nc_u32_e32 v5, 0x1400, v173
	;; [unrolled: 1-line block ×5, first 2 shown]
	ds_read2_b64 v[0:3], v173 offset0:117 offset1:252
	ds_read2_b64 v[32:35], v4 offset0:3 offset1:138
	;; [unrolled: 1-line block ×6, first 2 shown]
	ds_read_b64 v[48:49], v173 offset:13896
.LBB0_5:
	s_or_b32 exec_lo, exec_lo, s0
	s_waitcnt lgkmcnt(0)
	v_add_f32_e32 v52, v44, v46
	v_add_f32_e32 v53, v45, v47
	v_sub_f32_e32 v55, v47, v51
	v_add_f32_e32 v57, v51, v47
	v_add_f32_e32 v54, v50, v46
	v_add_f32_e32 v52, v52, v36
	v_add_f32_e32 v53, v53, v37
	v_sub_f32_e32 v56, v46, v50
	v_mul_f32_e32 v46, 0xbeedf032, v55
	v_mul_f32_e32 v58, 0xbf52af12, v55
	v_add_f32_e32 v47, v52, v38
	v_add_f32_e32 v52, v53, v39
	v_mul_f32_e32 v53, 0xbeedf032, v56
	v_fma_f32 v63, 0x3f62ad3f, v54, -v46
	v_fmac_f32_e32 v46, 0x3f62ad3f, v54
	v_add_f32_e32 v47, v47, v24
	v_add_f32_e32 v52, v52, v25
	v_mul_f32_e32 v59, 0xbf52af12, v56
	v_mul_f32_e32 v60, 0xbf7e222b, v55
	;; [unrolled: 1-line block ×3, first 2 shown]
	v_add_f32_e32 v47, v47, v26
	v_add_f32_e32 v52, v52, v27
	;; [unrolled: 1-line block ×3, first 2 shown]
	v_fmamk_f32 v64, v57, 0x3f62ad3f, v53
	v_fma_f32 v53, 0x3f62ad3f, v57, -v53
	v_add_f32_e32 v47, v47, v20
	v_add_f32_e32 v52, v52, v21
	v_fma_f32 v65, 0x3f116cb1, v54, -v58
	v_fmamk_f32 v66, v57, 0x3f116cb1, v59
	v_fma_f32 v67, 0x3df6dbef, v54, -v60
	v_add_f32_e32 v47, v47, v22
	v_add_f32_e32 v52, v52, v23
	v_fmamk_f32 v68, v57, 0x3df6dbef, v61
	v_sub_f32_e32 v75, v37, v43
	v_mul_f32_e32 v62, 0xbf6f5d39, v55
	v_add_f32_e32 v47, v47, v28
	v_add_f32_e32 v52, v52, v29
	v_mul_f32_e32 v71, 0xbf29c268, v56
	v_add_f32_e32 v77, v42, v36
	v_mul_f32_e32 v78, 0xbf52af12, v75
	v_add_f32_e32 v47, v47, v30
	v_add_f32_e32 v52, v52, v31
	v_fmac_f32_e32 v58, 0x3f116cb1, v54
	v_fma_f32 v59, 0x3f116cb1, v57, -v59
	v_fmac_f32_e32 v60, 0x3df6dbef, v54
	v_add_f32_e32 v46, v47, v40
	v_add_f32_e32 v47, v52, v41
	;; [unrolled: 1-line block ×8, first 2 shown]
	v_mul_f32_e32 v67, 0xbf6f5d39, v56
	v_mul_f32_e32 v56, 0xbe750f2a, v56
	v_fma_f32 v61, 0x3df6dbef, v57, -v61
	v_add_f32_e32 v47, v47, v51
	v_add_f32_e32 v51, v45, v68
	v_mul_f32_e32 v68, 0xbf29c268, v55
	v_mul_f32_e32 v55, 0xbe750f2a, v55
	v_add_f32_e32 v63, v44, v63
	v_add_f32_e32 v46, v46, v50
	v_fma_f32 v50, 0xbeb58ec6, v54, -v62
	v_fmamk_f32 v70, v57, 0xbeb58ec6, v67
	v_fmac_f32_e32 v62, 0xbeb58ec6, v54
	v_fma_f32 v67, 0xbeb58ec6, v57, -v67
	v_fma_f32 v72, 0xbf3f9e67, v54, -v68
	v_fmamk_f32 v73, v57, 0xbf3f9e67, v71
	v_fmac_f32_e32 v68, 0xbf3f9e67, v54
	v_fma_f32 v71, 0xbf3f9e67, v57, -v71
	v_fma_f32 v74, 0xbf788fa5, v54, -v55
	v_fmamk_f32 v76, v57, 0xbf788fa5, v56
	v_sub_f32_e32 v36, v36, v42
	v_fmac_f32_e32 v55, 0xbf788fa5, v54
	v_fma_f32 v42, 0xbf788fa5, v57, -v56
	v_fma_f32 v54, 0x3f116cb1, v77, -v78
	v_add_f32_e32 v64, v45, v64
	v_add_f32_e32 v59, v45, v59
	;; [unrolled: 1-line block ×9, first 2 shown]
	v_mul_f32_e32 v43, 0xbf52af12, v36
	v_add_f32_e32 v42, v45, v42
	v_add_f32_e32 v45, v54, v63
	v_mul_f32_e32 v54, 0xbf6f5d39, v75
	v_add_f32_e32 v58, v44, v58
	v_add_f32_e32 v60, v44, v60
	;; [unrolled: 1-line block ×8, first 2 shown]
	v_fmamk_f32 v55, v37, 0x3f116cb1, v43
	v_fma_f32 v43, 0x3f116cb1, v37, -v43
	v_mul_f32_e32 v56, 0xbf6f5d39, v36
	v_fma_f32 v57, 0xbeb58ec6, v77, -v54
	v_fmac_f32_e32 v54, 0xbeb58ec6, v77
	v_add_f32_e32 v55, v55, v64
	v_add_f32_e32 v43, v43, v52
	v_fmamk_f32 v52, v37, 0xbeb58ec6, v56
	v_add_f32_e32 v53, v57, v53
	v_mul_f32_e32 v57, 0xbe750f2a, v75
	v_fma_f32 v56, 0xbeb58ec6, v37, -v56
	v_mul_f32_e32 v64, 0xbe750f2a, v36
	v_add_f32_e32 v52, v52, v65
	v_add_f32_e32 v54, v54, v58
	v_fma_f32 v65, 0xbf788fa5, v77, -v57
	v_add_f32_e32 v56, v56, v59
	v_mul_f32_e32 v58, 0x3f29c268, v75
	v_fmamk_f32 v59, v37, 0xbf788fa5, v64
	v_fmac_f32_e32 v57, 0xbf788fa5, v77
	v_fma_f32 v64, 0xbf788fa5, v37, -v64
	v_fmac_f32_e32 v78, 0x3f116cb1, v77
	v_add_f32_e32 v65, v65, v66
	v_fma_f32 v66, 0xbf3f9e67, v77, -v58
	v_add_f32_e32 v57, v57, v60
	v_add_f32_e32 v60, v64, v61
	v_mul_f32_e32 v61, 0x3f7e222b, v75
	v_add_f32_e32 v63, v78, v69
	v_add_f32_e32 v51, v59, v51
	v_mul_f32_e32 v59, 0x3f29c268, v36
	v_add_f32_e32 v50, v66, v50
	v_fmac_f32_e32 v58, 0xbf3f9e67, v77
	v_mul_f32_e32 v66, 0x3f7e222b, v36
	v_fma_f32 v69, 0x3df6dbef, v77, -v61
	v_fmac_f32_e32 v61, 0x3df6dbef, v77
	v_fmamk_f32 v64, v37, 0xbf3f9e67, v59
	v_fma_f32 v59, 0xbf3f9e67, v37, -v59
	v_add_f32_e32 v58, v58, v62
	v_fmamk_f32 v62, v37, 0x3df6dbef, v66
	v_fma_f32 v66, 0x3df6dbef, v37, -v66
	v_add_f32_e32 v61, v61, v68
	v_sub_f32_e32 v68, v39, v41
	v_add_f32_e32 v59, v59, v67
	v_add_f32_e32 v67, v69, v72
	v_mul_f32_e32 v69, 0x3eedf032, v75
	v_add_f32_e32 v62, v62, v73
	v_mul_f32_e32 v36, 0x3eedf032, v36
	v_add_f32_e32 v66, v66, v71
	v_add_f32_e32 v71, v40, v38
	v_mul_f32_e32 v73, 0xbf7e222b, v68
	v_sub_f32_e32 v38, v38, v40
	v_add_f32_e32 v64, v64, v70
	v_fma_f32 v70, 0x3f62ad3f, v77, -v69
	v_fmamk_f32 v72, v37, 0x3f62ad3f, v36
	v_fmac_f32_e32 v69, 0x3f62ad3f, v77
	v_fma_f32 v36, 0x3f62ad3f, v37, -v36
	v_fma_f32 v37, 0x3df6dbef, v71, -v73
	v_add_f32_e32 v39, v41, v39
	v_mul_f32_e32 v40, 0xbf7e222b, v38
	v_add_f32_e32 v41, v69, v44
	v_add_f32_e32 v36, v36, v42
	;; [unrolled: 1-line block ×3, first 2 shown]
	v_mul_f32_e32 v45, 0xbe750f2a, v38
	v_fmamk_f32 v44, v39, 0x3df6dbef, v40
	v_fma_f32 v40, 0x3df6dbef, v39, -v40
	v_mul_f32_e32 v42, 0xbe750f2a, v68
	v_fmac_f32_e32 v73, 0x3df6dbef, v71
	v_add_f32_e32 v70, v70, v74
	v_add_f32_e32 v44, v44, v55
	;; [unrolled: 1-line block ×3, first 2 shown]
	v_fmamk_f32 v43, v39, 0xbf788fa5, v45
	v_fma_f32 v69, 0xbf788fa5, v71, -v42
	v_add_f32_e32 v55, v73, v63
	v_mul_f32_e32 v63, 0x3f6f5d39, v68
	v_fmac_f32_e32 v42, 0xbf788fa5, v71
	v_fma_f32 v45, 0xbf788fa5, v39, -v45
	v_add_f32_e32 v43, v43, v52
	v_mul_f32_e32 v52, 0x3f6f5d39, v38
	v_add_f32_e32 v53, v69, v53
	v_fma_f32 v69, 0xbeb58ec6, v71, -v63
	v_add_f32_e32 v42, v42, v54
	v_add_f32_e32 v45, v45, v56
	v_mul_f32_e32 v54, 0x3eedf032, v68
	v_fmamk_f32 v56, v39, 0xbeb58ec6, v52
	v_add_f32_e32 v65, v69, v65
	v_fmac_f32_e32 v63, 0xbeb58ec6, v71
	v_fma_f32 v52, 0xbeb58ec6, v39, -v52
	v_fma_f32 v69, 0x3f62ad3f, v71, -v54
	v_add_f32_e32 v51, v56, v51
	v_mul_f32_e32 v56, 0x3eedf032, v38
	v_add_f32_e32 v57, v63, v57
	v_add_f32_e32 v52, v52, v60
	;; [unrolled: 1-line block ×3, first 2 shown]
	v_mul_f32_e32 v60, 0xbf52af12, v68
	v_fmamk_f32 v63, v39, 0x3f62ad3f, v56
	v_fmac_f32_e32 v54, 0x3f62ad3f, v71
	v_mul_f32_e32 v69, 0xbf52af12, v38
	v_fma_f32 v56, 0x3f62ad3f, v39, -v56
	v_fma_f32 v73, 0x3f116cb1, v71, -v60
	v_add_f32_e32 v63, v63, v64
	v_add_f32_e32 v54, v54, v58
	v_fmamk_f32 v58, v39, 0x3f116cb1, v69
	v_mul_f32_e32 v64, 0xbf29c268, v68
	v_fmac_f32_e32 v60, 0x3f116cb1, v71
	v_add_f32_e32 v56, v56, v59
	v_add_f32_e32 v59, v73, v67
	;; [unrolled: 1-line block ×3, first 2 shown]
	v_fma_f32 v62, 0x3f116cb1, v39, -v69
	v_fma_f32 v67, 0xbf3f9e67, v71, -v64
	v_add_f32_e32 v60, v60, v61
	v_sub_f32_e32 v61, v25, v31
	v_mul_f32_e32 v38, 0xbf29c268, v38
	v_add_f32_e32 v62, v62, v66
	v_add_f32_e32 v66, v67, v70
	;; [unrolled: 1-line block ×3, first 2 shown]
	v_mul_f32_e32 v69, 0xbf6f5d39, v61
	v_sub_f32_e32 v24, v24, v30
	v_fmamk_f32 v68, v39, 0xbf3f9e67, v38
	v_fmac_f32_e32 v64, 0xbf3f9e67, v71
	v_fma_f32 v30, 0xbf3f9e67, v39, -v38
	v_fma_f32 v38, 0xbeb58ec6, v67, -v69
	v_add_f32_e32 v25, v31, v25
	v_mul_f32_e32 v31, 0xbf6f5d39, v24
	v_add_f32_e32 v39, v64, v41
	v_add_f32_e32 v30, v30, v36
	v_add_f32_e32 v36, v38, v37
	v_mul_f32_e32 v37, 0x3f29c268, v61
	v_fmamk_f32 v38, v25, 0xbeb58ec6, v31
	v_fmac_f32_e32 v69, 0xbeb58ec6, v67
	v_fma_f32 v31, 0xbeb58ec6, v25, -v31
	v_mul_f32_e32 v41, 0x3f29c268, v24
	v_fma_f32 v64, 0xbf3f9e67, v67, -v37
	v_add_f32_e32 v38, v38, v44
	v_add_f32_e32 v44, v69, v55
	;; [unrolled: 1-line block ×3, first 2 shown]
	v_fmamk_f32 v40, v25, 0xbf3f9e67, v41
	v_mul_f32_e32 v55, 0x3eedf032, v61
	v_fmac_f32_e32 v37, 0xbf3f9e67, v67
	v_add_f32_e32 v53, v64, v53
	v_fma_f32 v41, 0xbf3f9e67, v25, -v41
	v_add_f32_e32 v40, v40, v43
	v_mul_f32_e32 v43, 0x3eedf032, v24
	v_fma_f32 v64, 0x3f62ad3f, v67, -v55
	v_add_f32_e32 v37, v37, v42
	v_mul_f32_e32 v42, 0xbf7e222b, v61
	v_add_f32_e32 v41, v41, v45
	v_fmamk_f32 v45, v25, 0x3f62ad3f, v43
	v_add_f32_e32 v64, v64, v65
	v_fma_f32 v43, 0x3f62ad3f, v25, -v43
	v_fma_f32 v65, 0x3df6dbef, v67, -v42
	v_fmac_f32_e32 v55, 0x3f62ad3f, v67
	v_add_f32_e32 v45, v45, v51
	v_mul_f32_e32 v51, 0xbf7e222b, v24
	v_add_f32_e32 v43, v43, v52
	v_add_f32_e32 v50, v65, v50
	v_mul_f32_e32 v52, 0x3e750f2a, v61
	v_fmac_f32_e32 v42, 0x3df6dbef, v67
	v_mul_f32_e32 v65, 0x3e750f2a, v24
	v_add_f32_e32 v72, v72, v76
	v_add_f32_e32 v55, v55, v57
	v_fmamk_f32 v57, v25, 0x3df6dbef, v51
	v_fma_f32 v69, 0xbf788fa5, v67, -v52
	v_add_f32_e32 v42, v42, v54
	v_fmamk_f32 v54, v25, 0xbf788fa5, v65
	v_mul_f32_e32 v24, 0x3f52af12, v24
	v_fmac_f32_e32 v52, 0xbf788fa5, v67
	v_add_f32_e32 v68, v68, v72
	v_fma_f32 v51, 0x3df6dbef, v25, -v51
	v_add_f32_e32 v57, v57, v63
	v_add_f32_e32 v54, v54, v58
	v_fma_f32 v58, 0xbf788fa5, v25, -v65
	v_fmamk_f32 v63, v25, 0x3f116cb1, v24
	v_add_f32_e32 v52, v52, v60
	v_sub_f32_e32 v60, v27, v29
	v_add_f32_e32 v51, v51, v56
	v_add_f32_e32 v56, v69, v59
	v_mul_f32_e32 v59, 0x3f52af12, v61
	v_add_f32_e32 v58, v58, v62
	v_add_f32_e32 v62, v63, v68
	;; [unrolled: 1-line block ×3, first 2 shown]
	v_mul_f32_e32 v65, 0xbf29c268, v60
	v_sub_f32_e32 v26, v26, v28
	v_fma_f32 v24, 0x3f116cb1, v25, -v24
	v_fma_f32 v61, 0x3f116cb1, v67, -v59
	v_fmac_f32_e32 v59, 0x3f116cb1, v67
	v_add_f32_e32 v25, v29, v27
	v_fma_f32 v27, 0xbf3f9e67, v63, -v65
	v_mul_f32_e32 v28, 0xbf29c268, v26
	v_add_f32_e32 v24, v24, v30
	v_mul_f32_e32 v30, 0x3f7e222b, v60
	v_add_f32_e32 v29, v59, v39
	v_add_f32_e32 v27, v27, v36
	v_fmamk_f32 v36, v25, 0xbf3f9e67, v28
	v_fmac_f32_e32 v65, 0xbf3f9e67, v63
	v_fma_f32 v28, 0xbf3f9e67, v25, -v28
	v_fma_f32 v39, 0x3df6dbef, v63, -v30
	v_mul_f32_e32 v59, 0x3f7e222b, v26
	v_add_f32_e32 v36, v36, v38
	v_add_f32_e32 v38, v65, v44
	v_add_f32_e32 v28, v28, v31
	v_add_f32_e32 v31, v39, v53
	v_fmamk_f32 v39, v25, 0x3df6dbef, v59
	v_mul_f32_e32 v44, 0xbf52af12, v60
	v_fmac_f32_e32 v30, 0x3df6dbef, v63
	v_fma_f32 v53, 0x3df6dbef, v25, -v59
	v_mul_f32_e32 v59, 0xbf52af12, v26
	v_add_f32_e32 v39, v39, v40
	v_fma_f32 v40, 0x3f116cb1, v63, -v44
	v_add_f32_e32 v30, v30, v37
	v_add_f32_e32 v53, v53, v41
	v_fmamk_f32 v37, v25, 0x3f116cb1, v59
	v_mul_f32_e32 v41, 0x3e750f2a, v60
	v_add_f32_e32 v64, v40, v64
	v_fmac_f32_e32 v44, 0x3f116cb1, v63
	v_fma_f32 v40, 0x3f116cb1, v25, -v59
	v_add_f32_e32 v45, v37, v45
	v_fma_f32 v37, 0xbf788fa5, v63, -v41
	v_mul_f32_e32 v59, 0x3e750f2a, v26
	v_add_f32_e32 v44, v44, v55
	v_add_f32_e32 v55, v40, v43
	v_fmac_f32_e32 v41, 0xbf788fa5, v63
	v_add_f32_e32 v65, v37, v50
	v_fmamk_f32 v37, v25, 0xbf788fa5, v59
	v_fma_f32 v43, 0xbf788fa5, v25, -v59
	v_mul_f32_e32 v59, 0x3eedf032, v26
	v_add_f32_e32 v61, v61, v66
	v_add_f32_e32 v66, v41, v42
	;; [unrolled: 1-line block ×3, first 2 shown]
	v_mul_f32_e32 v26, 0xbf6f5d39, v26
	v_fmamk_f32 v37, v25, 0x3f62ad3f, v59
	v_fma_f32 v42, 0x3f62ad3f, v25, -v59
	v_sub_f32_e32 v59, v21, v23
	v_mul_f32_e32 v40, 0x3eedf032, v60
	v_add_f32_e32 v67, v43, v51
	v_mul_f32_e32 v41, 0xbf6f5d39, v60
	v_fmamk_f32 v43, v25, 0xbeb58ec6, v26
	v_add_f32_e32 v72, v22, v20
	v_sub_f32_e32 v20, v20, v22
	v_mul_f32_e32 v22, 0xbe750f2a, v59
	v_fma_f32 v25, 0xbeb58ec6, v25, -v26
	v_fma_f32 v50, 0x3f62ad3f, v63, -v40
	v_fmac_f32_e32 v40, 0x3f62ad3f, v63
	v_add_f32_e32 v54, v37, v54
	v_fma_f32 v37, 0xbeb58ec6, v63, -v41
	v_fmac_f32_e32 v41, 0xbeb58ec6, v63
	v_add_f32_e32 v21, v23, v21
	v_mul_f32_e32 v23, 0xbe750f2a, v20
	v_fma_f32 v26, 0xbf788fa5, v72, -v22
	v_add_f32_e32 v24, v25, v24
	v_mul_f32_e32 v25, 0x3eedf032, v59
	v_add_f32_e32 v52, v40, v52
	v_add_f32_e32 v73, v41, v29
	v_fmamk_f32 v29, v21, 0xbf788fa5, v23
	v_add_f32_e32 v40, v26, v27
	v_fma_f32 v23, 0xbf788fa5, v21, -v23
	v_fma_f32 v26, 0x3f62ad3f, v72, -v25
	v_mul_f32_e32 v27, 0x3eedf032, v20
	v_add_f32_e32 v58, v42, v58
	v_add_f32_e32 v70, v37, v61
	v_fmac_f32_e32 v22, 0xbf788fa5, v72
	v_add_f32_e32 v37, v23, v28
	v_add_f32_e32 v42, v26, v31
	v_fmamk_f32 v23, v21, 0x3f62ad3f, v27
	v_fma_f32 v26, 0x3f62ad3f, v21, -v27
	v_mul_f32_e32 v27, 0xbf29c268, v20
	v_add_f32_e32 v71, v43, v62
	v_add_f32_e32 v41, v29, v36
	;; [unrolled: 1-line block ×3, first 2 shown]
	v_mul_f32_e32 v22, 0xbf29c268, v59
	v_fmac_f32_e32 v25, 0x3f62ad3f, v72
	v_add_f32_e32 v43, v23, v39
	v_fmamk_f32 v23, v21, 0xbf3f9e67, v27
	v_add_f32_e32 v39, v26, v53
	v_fma_f32 v28, 0xbf3f9e67, v72, -v22
	v_add_f32_e32 v38, v25, v30
	v_mul_f32_e32 v25, 0x3f52af12, v59
	v_fmac_f32_e32 v22, 0xbf3f9e67, v72
	v_fma_f32 v26, 0xbf3f9e67, v21, -v27
	v_add_f32_e32 v51, v23, v45
	v_mul_f32_e32 v23, 0x3f52af12, v20
	v_fma_f32 v27, 0x3f116cb1, v72, -v25
	v_add_f32_e32 v44, v22, v44
	v_add_f32_e32 v45, v26, v55
	v_mul_f32_e32 v22, 0xbf6f5d39, v59
	v_fmamk_f32 v26, v21, 0x3f116cb1, v23
	v_fma_f32 v23, 0x3f116cb1, v21, -v23
	v_add_f32_e32 v56, v50, v56
	v_add_f32_e32 v62, v27, v65
	v_fma_f32 v27, 0xbeb58ec6, v72, -v22
	v_sub_f32_e32 v29, v3, v49
	v_add_f32_e32 v61, v23, v67
	v_mul_f32_e32 v23, 0x3f7e222b, v59
	v_add_f32_e32 v50, v28, v64
	v_fmac_f32_e32 v25, 0x3f116cb1, v72
	v_add_f32_e32 v63, v26, v57
	v_mul_f32_e32 v26, 0xbf6f5d39, v20
	v_add_f32_e32 v68, v27, v56
	v_fmac_f32_e32 v22, 0xbeb58ec6, v72
	v_mul_f32_e32 v20, 0x3f7e222b, v20
	v_fma_f32 v27, 0x3df6dbef, v72, -v23
	v_fmac_f32_e32 v23, 0x3df6dbef, v72
	v_add_f32_e32 v74, v48, v2
	v_sub_f32_e32 v28, v2, v48
	v_mul_f32_e32 v72, 0xbeedf032, v29
	v_sub_f32_e32 v31, v33, v7
	v_add_f32_e32 v60, v25, v66
	v_fmamk_f32 v25, v21, 0xbeb58ec6, v26
	v_fma_f32 v26, 0xbeb58ec6, v21, -v26
	v_add_f32_e32 v64, v22, v52
	v_fmamk_f32 v22, v21, 0x3df6dbef, v20
	v_add_f32_e32 v66, v27, v70
	v_add_f32_e32 v70, v23, v73
	v_fma_f32 v20, 0x3df6dbef, v21, -v20
	v_add_f32_e32 v75, v49, v3
	v_fmamk_f32 v21, v74, 0x3f62ad3f, v72
	v_mul_f32_e32 v23, 0xbf52af12, v28
	v_sub_f32_e32 v30, v32, v6
	v_add_f32_e32 v80, v6, v32
	v_mul_f32_e32 v78, 0xbf52af12, v31
	v_add_f32_e32 v69, v25, v54
	v_add_f32_e32 v21, v21, v0
	v_fmamk_f32 v25, v75, 0x3f116cb1, v23
	v_fma_f32 v23, 0x3f116cb1, v75, -v23
	v_add_f32_e32 v81, v7, v33
	v_fmamk_f32 v53, v80, 0x3f116cb1, v78
	v_mul_f32_e32 v54, 0xbf6f5d39, v30
	v_add_f32_e32 v67, v22, v71
	v_mul_f32_e32 v73, 0xbeedf032, v28
	v_mul_f32_e32 v22, 0xbf52af12, v29
	v_add_f32_e32 v23, v23, v1
	v_add_f32_e32 v21, v53, v21
	v_fmamk_f32 v53, v81, 0xbeb58ec6, v54
	v_fma_f32 v54, 0xbeb58ec6, v81, -v54
	v_add_f32_e32 v65, v26, v58
	v_add_f32_e32 v71, v20, v24
	v_fma_f32 v20, 0x3f62ad3f, v75, -v73
	v_fma_f32 v24, 0x3f116cb1, v74, -v22
	v_fmac_f32_e32 v22, 0x3f116cb1, v74
	v_add_f32_e32 v25, v25, v1
	v_mul_f32_e32 v26, 0xbf7e222b, v29
	v_mul_f32_e32 v79, 0xbf52af12, v30
	;; [unrolled: 1-line block ×3, first 2 shown]
	v_add_f32_e32 v23, v54, v23
	v_sub_f32_e32 v54, v34, v4
	v_add_f32_e32 v20, v20, v1
	v_add_f32_e32 v22, v22, v0
	v_fma_f32 v27, 0x3df6dbef, v74, -v26
	v_fma_f32 v55, 0x3f116cb1, v81, -v79
	;; [unrolled: 1-line block ×3, first 2 shown]
	v_fmac_f32_e32 v52, 0xbeb58ec6, v80
	v_add_f32_e32 v25, v53, v25
	v_mul_f32_e32 v53, 0xbe750f2a, v31
	v_add_f32_e32 v85, v5, v35
	v_mul_f32_e32 v57, 0xbe750f2a, v54
	v_add_f32_e32 v24, v24, v0
	v_add_f32_e32 v27, v27, v0
	;; [unrolled: 1-line block ×4, first 2 shown]
	v_sub_f32_e32 v55, v35, v5
	v_fma_f32 v52, 0xbf788fa5, v80, -v53
	v_mul_f32_e32 v83, 0xbf7e222b, v54
	v_fmamk_f32 v76, v85, 0xbf788fa5, v57
	v_add_f32_e32 v24, v56, v24
	v_add_f32_e32 v84, v4, v34
	v_mul_f32_e32 v82, 0xbf7e222b, v55
	v_mul_f32_e32 v56, 0xbe750f2a, v55
	v_add_f32_e32 v27, v52, v27
	v_fma_f32 v52, 0x3df6dbef, v85, -v83
	v_add_f32_e32 v25, v76, v25
	v_sub_f32_e32 v76, v17, v11
	v_fmamk_f32 v58, v84, 0x3df6dbef, v82
	v_fma_f32 v59, 0xbf788fa5, v84, -v56
	v_fmac_f32_e32 v56, 0xbf788fa5, v84
	v_add_f32_e32 v20, v52, v20
	v_fma_f32 v52, 0xbf788fa5, v85, -v57
	v_add_f32_e32 v88, v10, v16
	v_mul_f32_e32 v86, 0xbf6f5d39, v76
	v_sub_f32_e32 v57, v16, v10
	v_add_f32_e32 v21, v58, v21
	v_add_f32_e32 v24, v59, v24
	;; [unrolled: 1-line block ×3, first 2 shown]
	v_mul_f32_e32 v56, 0x3f6f5d39, v55
	v_add_f32_e32 v89, v11, v17
	v_fmamk_f32 v58, v88, 0xbeb58ec6, v86
	v_mul_f32_e32 v59, 0x3f29c268, v76
	v_mul_f32_e32 v77, 0x3f29c268, v57
	v_add_f32_e32 v23, v52, v23
	v_fma_f32 v52, 0xbeb58ec6, v84, -v56
	v_mul_f32_e32 v87, 0xbf6f5d39, v57
	v_add_f32_e32 v21, v58, v21
	v_fma_f32 v58, 0xbf3f9e67, v88, -v59
	v_fmamk_f32 v90, v89, 0xbf3f9e67, v77
	v_fmac_f32_e32 v59, 0xbf3f9e67, v88
	v_fma_f32 v77, 0xbf3f9e67, v89, -v77
	v_sub_f32_e32 v98, v18, v8
	v_add_f32_e32 v27, v52, v27
	v_fma_f32 v52, 0xbeb58ec6, v89, -v87
	v_add_f32_e32 v22, v59, v22
	v_add_f32_e32 v23, v77, v23
	v_sub_f32_e32 v77, v19, v9
	v_add_f32_e32 v93, v9, v19
	v_mul_f32_e32 v59, 0x3f7e222b, v98
	v_add_f32_e32 v20, v52, v20
	v_add_f32_e32 v24, v58, v24
	;; [unrolled: 1-line block ×3, first 2 shown]
	v_mul_f32_e32 v52, 0x3eedf032, v76
	v_add_f32_e32 v92, v8, v18
	v_mul_f32_e32 v90, 0xbf29c268, v77
	v_mul_f32_e32 v91, 0xbf29c268, v98
	;; [unrolled: 1-line block ×3, first 2 shown]
	v_fmamk_f32 v99, v93, 0x3df6dbef, v59
	v_fma_f32 v94, 0x3f62ad3f, v88, -v52
	v_fmamk_f32 v95, v92, 0xbf3f9e67, v90
	v_fma_f32 v96, 0xbf3f9e67, v93, -v91
	v_fma_f32 v97, 0x3df6dbef, v92, -v58
	v_add_f32_e32 v25, v99, v25
	v_fmac_f32_e32 v58, 0x3df6dbef, v92
	v_sub_f32_e32 v99, v13, v15
	v_sub_f32_e32 v100, v12, v14
	v_mul_f32_e32 v101, 0xbf52af12, v77
	v_add_f32_e32 v27, v94, v27
	v_add_f32_e32 v21, v95, v21
	;; [unrolled: 1-line block ×4, first 2 shown]
	v_fma_f32 v59, 0x3df6dbef, v93, -v59
	v_add_f32_e32 v97, v14, v12
	v_add_f32_e32 v96, v15, v13
	v_mul_f32_e32 v94, 0xbe750f2a, v99
	v_mul_f32_e32 v95, 0xbe750f2a, v100
	v_add_f32_e32 v22, v58, v22
	v_fma_f32 v58, 0x3f116cb1, v92, -v101
	v_add_f32_e32 v23, v59, v23
	v_fmamk_f32 v59, v97, 0xbf788fa5, v94
	v_fma_f32 v102, 0xbf788fa5, v96, -v95
	v_mul_f32_e32 v103, 0x3eedf032, v99
	v_add_f32_e32 v27, v58, v27
	v_mul_f32_e32 v58, 0xbf7e222b, v28
	v_mul_f32_e32 v104, 0x3eedf032, v100
	v_add_f32_e32 v169, v59, v21
	v_add_f32_e32 v170, v102, v20
	v_mul_f32_e32 v102, 0xbe750f2a, v30
	v_fmamk_f32 v59, v75, 0x3df6dbef, v58
	v_fma_f32 v20, 0x3f62ad3f, v97, -v103
	v_fmamk_f32 v21, v96, 0x3f62ad3f, v104
	v_mul_f32_e32 v107, 0x3f6f5d39, v54
	v_fmamk_f32 v106, v81, 0xbf788fa5, v102
	v_add_f32_e32 v59, v59, v1
	v_fmac_f32_e32 v26, 0x3df6dbef, v74
	v_fmac_f32_e32 v103, 0x3f62ad3f, v97
	v_add_f32_e32 v24, v20, v24
	v_add_f32_e32 v25, v21, v25
	;; [unrolled: 1-line block ×3, first 2 shown]
	v_fmamk_f32 v21, v85, 0xbeb58ec6, v107
	v_mul_f32_e32 v59, 0x3eedf032, v57
	v_add_f32_e32 v26, v26, v0
	v_fmac_f32_e32 v53, 0xbf788fa5, v80
	v_add_f32_e32 v22, v103, v22
	v_add_f32_e32 v20, v21, v20
	v_fmamk_f32 v21, v89, 0x3f62ad3f, v59
	v_mul_f32_e32 v103, 0xbf52af12, v98
	v_add_f32_e32 v26, v53, v26
	v_fmac_f32_e32 v56, 0xbeb58ec6, v84
	v_fma_f32 v104, 0x3f62ad3f, v96, -v104
	v_mul_f32_e32 v105, 0xbf29c268, v99
	v_add_f32_e32 v20, v21, v20
	v_fmamk_f32 v21, v93, 0x3f116cb1, v103
	v_mul_f32_e32 v53, 0xbf29c268, v100
	v_add_f32_e32 v56, v56, v26
	v_fmac_f32_e32 v52, 0x3f62ad3f, v88
	v_add_f32_e32 v23, v104, v23
	v_fma_f32 v104, 0xbf3f9e67, v97, -v105
	v_add_f32_e32 v20, v21, v20
	v_fmamk_f32 v21, v96, 0xbf3f9e67, v53
	v_fma_f32 v58, 0x3df6dbef, v75, -v58
	v_add_f32_e32 v52, v52, v56
	v_fmac_f32_e32 v101, 0x3f116cb1, v92
	v_add_f32_e32 v26, v104, v27
	v_add_f32_e32 v27, v21, v20
	v_mul_f32_e32 v56, 0xbf6f5d39, v29
	v_add_f32_e32 v20, v58, v1
	v_fma_f32 v21, 0xbf788fa5, v81, -v102
	v_add_f32_e32 v52, v101, v52
	v_mul_f32_e32 v101, 0xbf6f5d39, v28
	v_fma_f32 v58, 0xbeb58ec6, v74, -v56
	v_mul_f32_e32 v102, 0x3f29c268, v31
	v_add_f32_e32 v20, v21, v20
	v_fma_f32 v21, 0xbeb58ec6, v85, -v107
	v_fmamk_f32 v104, v75, 0xbeb58ec6, v101
	v_mul_f32_e32 v106, 0x3f29c268, v30
	v_add_f32_e32 v58, v58, v0
	v_mul_f32_e32 v108, 0x3eedf032, v55
	v_add_f32_e32 v20, v21, v20
	v_fma_f32 v21, 0x3f62ad3f, v89, -v59
	v_fma_f32 v59, 0xbf3f9e67, v80, -v102
	v_add_f32_e32 v104, v104, v1
	v_fmamk_f32 v107, v81, 0xbf3f9e67, v106
	v_fmac_f32_e32 v105, 0xbf3f9e67, v97
	v_add_f32_e32 v20, v21, v20
	v_fma_f32 v21, 0x3f116cb1, v93, -v103
	v_add_f32_e32 v58, v59, v58
	v_add_f32_e32 v59, v107, v104
	v_fma_f32 v103, 0x3f62ad3f, v84, -v108
	v_mul_f32_e32 v104, 0x3eedf032, v54
	v_add_f32_e32 v21, v21, v20
	v_fma_f32 v53, 0xbf3f9e67, v96, -v53
	v_mul_f32_e32 v109, 0xbf7e222b, v57
	v_add_f32_e32 v58, v103, v58
	v_fmamk_f32 v103, v85, 0x3f62ad3f, v104
	v_mul_f32_e32 v107, 0xbf7e222b, v76
	v_add_f32_e32 v20, v105, v52
	v_add_f32_e32 v21, v53, v21
	v_fmamk_f32 v53, v89, 0x3df6dbef, v109
	v_add_f32_e32 v52, v103, v59
	v_fma_f32 v110, 0x3df6dbef, v88, -v107
	v_mul_f32_e32 v59, 0x3e750f2a, v77
	v_mul_f32_e32 v103, 0x3e750f2a, v98
	v_fmac_f32_e32 v56, 0xbeb58ec6, v74
	v_add_f32_e32 v52, v53, v52
	v_fma_f32 v53, 0xbeb58ec6, v75, -v101
	v_add_f32_e32 v58, v110, v58
	v_fma_f32 v101, 0xbf788fa5, v92, -v59
	v_fmamk_f32 v105, v93, 0xbf788fa5, v103
	v_add_f32_e32 v56, v56, v0
	v_fmac_f32_e32 v102, 0xbf3f9e67, v80
	v_add_f32_e32 v53, v53, v1
	v_fma_f32 v106, 0xbf3f9e67, v81, -v106
	v_add_f32_e32 v58, v101, v58
	v_add_f32_e32 v101, v105, v52
	;; [unrolled: 1-line block ×3, first 2 shown]
	v_fmac_f32_e32 v108, 0x3f62ad3f, v84
	v_add_f32_e32 v53, v106, v53
	v_fma_f32 v56, 0x3f62ad3f, v85, -v104
	v_mul_f32_e32 v104, 0x3f52af12, v100
	v_mul_f32_e32 v102, 0x3f52af12, v99
	v_add_f32_e32 v52, v108, v52
	v_fmac_f32_e32 v107, 0x3df6dbef, v88
	v_add_f32_e32 v53, v56, v53
	v_fma_f32 v56, 0x3df6dbef, v89, -v109
	v_fmamk_f32 v106, v96, 0x3f116cb1, v104
	v_fma_f32 v105, 0x3f116cb1, v97, -v102
	v_add_f32_e32 v107, v107, v52
	v_fmac_f32_e32 v59, 0xbf788fa5, v92
	v_add_f32_e32 v56, v56, v53
	v_fma_f32 v103, 0xbf788fa5, v93, -v103
	v_add_f32_e32 v53, v106, v101
	v_mul_f32_e32 v101, 0xbf29c268, v29
	v_add_f32_e32 v52, v105, v58
	v_add_f32_e32 v58, v59, v107
	;; [unrolled: 1-line block ×3, first 2 shown]
	v_mul_f32_e32 v103, 0xbf29c268, v28
	v_fmac_f32_e32 v102, 0x3f116cb1, v97
	v_fma_f32 v59, 0x3f116cb1, v96, -v104
	v_fma_f32 v104, 0xbf3f9e67, v74, -v101
	v_mul_f32_e32 v105, 0x3f7e222b, v31
	v_fmamk_f32 v106, v75, 0xbf3f9e67, v103
	v_mul_f32_e32 v107, 0x3f7e222b, v30
	v_add_f32_e32 v58, v102, v58
	v_add_f32_e32 v102, v104, v0
	v_fma_f32 v104, 0x3df6dbef, v80, -v105
	v_mul_f32_e32 v29, 0xbe750f2a, v29
	v_add_f32_e32 v106, v106, v1
	v_fmamk_f32 v108, v81, 0x3df6dbef, v107
	v_add_f32_e32 v59, v59, v56
	v_fmac_f32_e32 v101, 0xbf3f9e67, v74
	v_add_f32_e32 v56, v104, v102
	v_fma_f32 v104, 0xbf788fa5, v74, -v29
	v_mul_f32_e32 v31, 0x3eedf032, v31
	v_add_f32_e32 v102, v108, v106
	v_fma_f32 v103, 0xbf3f9e67, v75, -v103
	v_add_f32_e32 v101, v101, v0
	v_fmac_f32_e32 v105, 0x3df6dbef, v80
	v_mul_f32_e32 v28, 0xbe750f2a, v28
	v_fma_f32 v106, 0x3df6dbef, v81, -v107
	v_add_f32_e32 v104, v104, v0
	v_fma_f32 v107, 0x3f62ad3f, v80, -v31
	v_add_f32_e32 v103, v103, v1
	v_add_f32_e32 v101, v105, v101
	v_fmamk_f32 v105, v75, 0xbf788fa5, v28
	v_mul_f32_e32 v30, 0x3eedf032, v30
	v_add_f32_e32 v104, v107, v104
	v_fmac_f32_e32 v29, 0xbf788fa5, v74
	v_fma_f32 v28, 0xbf788fa5, v75, -v28
	v_mul_f32_e32 v107, 0xbf52af12, v55
	v_add_f32_e32 v103, v106, v103
	v_fmamk_f32 v106, v81, 0x3f62ad3f, v30
	v_add_f32_e32 v29, v29, v0
	v_fmac_f32_e32 v31, 0x3f62ad3f, v80
	v_add_f32_e32 v28, v28, v1
	v_fma_f32 v30, 0x3f62ad3f, v81, -v30
	v_fma_f32 v108, 0x3f116cb1, v84, -v107
	v_mul_f32_e32 v109, 0xbf52af12, v54
	v_add_f32_e32 v105, v105, v1
	v_add_f32_e32 v29, v31, v29
	;; [unrolled: 1-line block ×4, first 2 shown]
	v_fmamk_f32 v31, v85, 0x3f116cb1, v109
	v_mul_f32_e32 v55, 0xbf29c268, v55
	v_fma_f32 v56, 0x3f116cb1, v85, -v109
	v_mul_f32_e32 v54, 0xbf29c268, v54
	v_add_f32_e32 v105, v106, v105
	v_add_f32_e32 v31, v31, v102
	v_fma_f32 v102, 0xbf3f9e67, v84, -v55
	v_add_f32_e32 v56, v56, v103
	v_fmamk_f32 v103, v85, 0xbf3f9e67, v54
	v_mul_f32_e32 v106, 0x3e750f2a, v76
	v_fma_f32 v54, 0xbf3f9e67, v85, -v54
	v_fmac_f32_e32 v107, 0x3f116cb1, v84
	v_add_f32_e32 v102, v102, v104
	v_fmac_f32_e32 v55, 0xbf3f9e67, v84
	v_add_f32_e32 v103, v103, v105
	v_fma_f32 v104, 0xbf788fa5, v88, -v106
	v_mul_f32_e32 v105, 0x3e750f2a, v57
	v_add_f32_e32 v28, v54, v28
	v_mul_f32_e32 v54, 0x3f52af12, v76
	v_add_f32_e32 v101, v107, v101
	v_add_f32_e32 v29, v55, v29
	;; [unrolled: 1-line block ×3, first 2 shown]
	v_fmamk_f32 v55, v89, 0xbf788fa5, v105
	v_fmac_f32_e32 v106, 0xbf788fa5, v88
	v_fma_f32 v76, 0xbf788fa5, v89, -v105
	v_fma_f32 v104, 0x3f116cb1, v88, -v54
	v_mul_f32_e32 v57, 0x3f52af12, v57
	v_add_f32_e32 v31, v55, v31
	v_add_f32_e32 v55, v106, v101
	;; [unrolled: 1-line block ×4, first 2 shown]
	v_fmamk_f32 v101, v89, 0x3f116cb1, v57
	v_mul_f32_e32 v102, 0x3eedf032, v77
	v_mul_f32_e32 v104, 0x3eedf032, v98
	v_fmac_f32_e32 v54, 0x3f116cb1, v88
	v_fma_f32 v57, 0x3f116cb1, v89, -v57
	v_add_f32_e32 v101, v101, v103
	v_fma_f32 v103, 0x3f62ad3f, v92, -v102
	v_fmac_f32_e32 v102, 0x3f62ad3f, v92
	v_add_f32_e32 v29, v54, v29
	v_add_f32_e32 v28, v57, v28
	v_mul_f32_e32 v54, 0xbf6f5d39, v77
	v_mul_f32_e32 v57, 0xbf6f5d39, v98
	v_add_f32_e32 v98, v102, v55
	v_fma_f32 v55, 0x3f62ad3f, v93, -v104
	v_mul_f32_e32 v102, 0xbf6f5d39, v99
	v_fmamk_f32 v105, v93, 0x3f62ad3f, v104
	v_add_f32_e32 v30, v103, v30
	v_fma_f32 v77, 0xbeb58ec6, v92, -v54
	v_fmamk_f32 v103, v93, 0xbeb58ec6, v57
	v_fmac_f32_e32 v54, 0xbeb58ec6, v92
	v_add_f32_e32 v104, v55, v56
	v_fma_f32 v55, 0xbeb58ec6, v97, -v102
	v_add_f32_e32 v31, v105, v31
	v_add_f32_e32 v101, v103, v101
	;; [unrolled: 1-line block ×3, first 2 shown]
	v_fma_f32 v29, 0xbeb58ec6, v93, -v57
	v_add_f32_e32 v54, v55, v30
	v_mul_f32_e32 v30, 0xbf6f5d39, v100
	v_fmac_f32_e32 v102, 0xbeb58ec6, v97
	v_add_f32_e32 v105, v77, v76
	v_add_f32_e32 v106, v29, v28
	v_add_co_u32 v77, s0, 0x75, v174
	v_fmamk_f32 v28, v96, 0xbeb58ec6, v30
	v_fma_f32 v29, 0xbeb58ec6, v96, -v30
	v_mul_f32_e32 v30, 0x3f7e222b, v99
	v_mul_f32_e32 v99, 0x3f7e222b, v100
	v_add_co_ci_u32_e64 v55, null, 0, 0, s0
	v_add_f32_e32 v55, v28, v31
	v_add_f32_e32 v56, v102, v98
	;; [unrolled: 1-line block ×3, first 2 shown]
	v_fma_f32 v28, 0x3df6dbef, v97, -v30
	v_fmamk_f32 v29, v96, 0x3df6dbef, v99
	v_fmac_f32_e32 v30, 0x3df6dbef, v97
	v_mul_lo_u16 v31, v174, 13
	v_mov_b32_e32 v76, 3
	v_fma_f32 v98, 0x3df6dbef, v96, -v99
	v_add_f32_e32 v28, v28, v105
	v_add_f32_e32 v29, v29, v101
	;; [unrolled: 1-line block ×3, first 2 shown]
	v_lshlrev_b32_sdwa v189, v76, v31 dst_sel:DWORD dst_unused:UNUSED_PAD src0_sel:DWORD src1_sel:WORD_0
	v_add_f32_e32 v31, v98, v106
	v_mul_u32_u24_e32 v175, 13, v77
	s_barrier
	buffer_gl0_inv
	ds_write2_b64 v189, v[46:47], v[40:41] offset1:1
	ds_write2_b64 v189, v[42:43], v[50:51] offset0:2 offset1:3
	ds_write2_b64 v189, v[62:63], v[68:69] offset0:4 offset1:5
	;; [unrolled: 1-line block ×5, first 2 shown]
	ds_write_b64 v189, v[36:37] offset:96
	s_and_saveexec_b32 s0, vcc_lo
	s_cbranch_execz .LBB0_7
; %bb.6:
	v_add_f32_e32 v3, v3, v1
	v_add_f32_e32 v2, v2, v0
	v_mul_f32_e32 v36, 0x3f62ad3f, v74
	v_mul_f32_e32 v37, 0x3f62ad3f, v75
	;; [unrolled: 1-line block ×3, first 2 shown]
	v_add_f32_e32 v3, v33, v3
	v_add_f32_e32 v2, v32, v2
	v_mul_f32_e32 v39, 0x3f116cb1, v81
	v_mul_f32_e32 v40, 0x3df6dbef, v84
	;; [unrolled: 1-line block ×3, first 2 shown]
	v_add_f32_e32 v3, v35, v3
	v_add_f32_e32 v2, v34, v2
	;; [unrolled: 1-line block ×3, first 2 shown]
	v_mul_f32_e32 v42, 0xbeb58ec6, v88
	v_mul_f32_e32 v32, 0xbeb58ec6, v89
	v_add_f32_e32 v3, v17, v3
	v_add_f32_e32 v2, v16, v2
	v_sub_f32_e32 v16, v36, v72
	v_add_f32_e32 v1, v35, v1
	v_add_f32_e32 v17, v79, v39
	;; [unrolled: 1-line block ×5, first 2 shown]
	v_sub_f32_e32 v16, v38, v78
	v_add_f32_e32 v1, v17, v1
	v_add_f32_e32 v3, v13, v3
	;; [unrolled: 1-line block ×5, first 2 shown]
	v_sub_f32_e32 v13, v40, v82
	v_add_f32_e32 v3, v15, v3
	v_add_f32_e32 v2, v14, v2
	v_mul_f32_e32 v33, 0xbf3f9e67, v92
	v_mul_f32_e32 v43, 0xbf3f9e67, v93
	v_add_f32_e32 v1, v12, v1
	v_add_f32_e32 v3, v9, v3
	;; [unrolled: 1-line block ×5, first 2 shown]
	v_sub_f32_e32 v8, v42, v86
	v_add_f32_e32 v3, v11, v3
	v_add_f32_e32 v2, v10, v2
	v_mul_f32_e32 v34, 0xbf788fa5, v97
	v_mul_f32_e32 v37, 0xbf788fa5, v96
	v_add_f32_e32 v1, v12, v1
	v_add_f32_e32 v9, v91, v43
	;; [unrolled: 1-line block ×3, first 2 shown]
	v_sub_f32_e32 v8, v33, v90
	v_add_f32_e32 v3, v5, v3
	v_add_f32_e32 v2, v4, v2
	v_add_f32_e32 v1, v9, v1
	v_add_f32_e32 v4, v95, v37
	v_add_f32_e32 v0, v8, v0
	v_sub_f32_e32 v5, v34, v94
	v_add_f32_e32 v3, v7, v3
	v_add_f32_e32 v2, v6, v2
	;; [unrolled: 1-line block ×3, first 2 shown]
	v_lshlrev_b32_e32 v4, 3, v175
	v_add_f32_e32 v0, v5, v0
	v_add_f32_e32 v3, v49, v3
	;; [unrolled: 1-line block ×3, first 2 shown]
	ds_write2_b64 v4, v[2:3], v[0:1] offset1:1
	ds_write2_b64 v4, v[24:25], v[26:27] offset0:2 offset1:3
	ds_write2_b64 v4, v[52:53], v[54:55] offset0:4 offset1:5
	ds_write2_b64 v4, v[28:29], v[30:31] offset0:6 offset1:7
	ds_write2_b64 v4, v[56:57], v[58:59] offset0:8 offset1:9
	ds_write2_b64 v4, v[20:21], v[22:23] offset0:10 offset1:11
	ds_write_b64 v4, v[169:170] offset:96
.LBB0_7:
	s_or_b32 exec_lo, exec_lo, s0
	v_and_b32_e32 v72, 0xff, v174
	v_add_co_u32 v78, null, 0xea, v174
	v_mov_b32_e32 v1, 0x4ec5
	v_and_b32_e32 v73, 0xff, v77
	v_mul_lo_u16 v0, 0x4f, v72
	v_add_nc_u32_e32 v60, 0x15f, v174
	v_add_nc_u32_e32 v61, 0x1d4, v174
	s_waitcnt lgkmcnt(0)
	v_mul_lo_u16 v2, 0x4f, v73
	v_lshrrev_b16 v74, 10, v0
	v_mul_u32_u24_sdwa v0, v78, v1 dst_sel:DWORD dst_unused:UNUSED_PAD src0_sel:WORD_0 src1_sel:DWORD
	v_mul_u32_u24_sdwa v3, v60, v1 dst_sel:DWORD dst_unused:UNUSED_PAD src0_sel:WORD_0 src1_sel:DWORD
	;; [unrolled: 1-line block ×3, first 2 shown]
	v_lshrrev_b16 v75, 10, v2
	v_mul_lo_u16 v2, v74, 13
	v_lshrrev_b32_e32 v79, 18, v0
	v_lshrrev_b32_e32 v80, 18, v3
	;; [unrolled: 1-line block ×3, first 2 shown]
	v_mul_lo_u16 v0, v75, 13
	v_sub_nc_u16 v2, v174, v2
	v_mul_lo_u16 v3, v79, 13
	v_mul_lo_u16 v1, v80, 13
	s_barrier
	v_sub_nc_u16 v0, v77, v0
	v_and_b32_e32 v81, 0xff, v2
	v_sub_nc_u16 v83, v78, v3
	v_sub_nc_u16 v85, v60, v1
	v_mul_lo_u16 v2, v82, 13
	v_and_b32_e32 v84, 0xff, v0
	v_lshlrev_b32_e32 v0, 4, v81
	v_lshlrev_b16 v1, 1, v83
	buffer_gl0_inv
	v_sub_nc_u16 v86, v61, v2
	v_lshlrev_b32_e32 v3, 4, v84
	global_load_dwordx4 v[16:19], v0, s[4:5]
	v_lshlrev_b32_sdwa v1, v76, v1 dst_sel:DWORD dst_unused:UNUSED_PAD src0_sel:DWORD src1_sel:WORD_0
	v_mov_b32_e32 v88, 0xa41b
	v_lshlrev_b16 v2, 1, v86
	global_load_dwordx4 v[12:15], v3, s[4:5]
	v_mul_lo_u16 v72, 0xa5, v72
	global_load_dwordx4 v[8:11], v1, s[4:5]
	v_lshlrev_b16 v0, 1, v85
	v_lshlrev_b32_sdwa v1, v76, v2 dst_sel:DWORD dst_unused:UNUSED_PAD src0_sel:DWORD src1_sel:WORD_0
	v_mul_u32_u24_sdwa v89, v78, v88 dst_sel:DWORD dst_unused:UNUSED_PAD src0_sel:WORD_0 src1_sel:DWORD
	v_mul_lo_u16 v73, 0xa5, v73
	v_add_nc_u32_e32 v107, 0xc00, v173
	v_lshlrev_b32_sdwa v0, v76, v0 dst_sel:DWORD dst_unused:UNUSED_PAD src0_sel:DWORD src1_sel:WORD_0
	v_mov_b32_e32 v87, 39
	v_lshrrev_b16 v72, 8, v72
	s_clause 0x1
	global_load_dwordx4 v[4:7], v0, s[4:5]
	global_load_dwordx4 v[0:3], v1, s[4:5]
	v_add_nc_u32_e32 v106, 0x2400, v173
	v_mul_u32_u24_sdwa v90, v60, v88 dst_sel:DWORD dst_unused:UNUSED_PAD src0_sel:WORD_0 src1_sel:DWORD
	v_lshrrev_b32_e32 v89, 16, v89
	v_add_nc_u32_e32 v108, 0x1400, v173
	v_lshrrev_b16 v73, 8, v73
	v_add_nc_u32_e32 v110, 0x400, v173
	v_mul_u32_u24_sdwa v88, v61, v88 dst_sel:DWORD dst_unused:UNUSED_PAD src0_sel:WORD_0 src1_sel:DWORD
	v_add_nc_u32_e32 v120, 0x2800, v173
	ds_read2_b64 v[32:35], v173 offset1:117
	v_add_nc_u32_e32 v109, 0x1c00, v173
	ds_read_b64 v[70:71], v173 offset:13104
	ds_read2_b64 v[36:39], v107 offset0:84 offset1:201
	ds_read2_b64 v[40:43], v106 offset0:18 offset1:135
	;; [unrolled: 1-line block ×6, first 2 shown]
	v_mul_u32_u24_sdwa v74, v74, v87 dst_sel:DWORD dst_unused:UNUSED_PAD src0_sel:WORD_0 src1_sel:DWORD
	v_mul_u32_u24_sdwa v75, v75, v87 dst_sel:DWORD dst_unused:UNUSED_PAD src0_sel:WORD_0 src1_sel:DWORD
	v_sub_nc_u16 v87, v174, v72
	v_lshrrev_b32_e32 v90, 16, v90
	v_sub_nc_u16 v92, v78, v89
	v_sub_nc_u16 v91, v77, v73
	v_lshrrev_b32_e32 v88, 16, v88
	v_lshrrev_b16 v87, 1, v87
	v_sub_nc_u16 v93, v60, v90
	v_lshrrev_b16 v92, 1, v92
	v_lshrrev_b16 v91, 1, v91
	v_sub_nc_u16 v94, v61, v88
	v_mad_u16 v79, v79, 39, v83
	v_and_b32_e32 v83, 0x7f, v87
	v_lshrrev_b16 v93, 1, v93
	v_mad_u16 v82, v82, 39, v86
	v_add_nc_u16 v86, v92, v89
	v_mad_u16 v80, v80, 39, v85
	v_and_b32_e32 v85, 0x7f, v91
	v_lshrrev_b16 v94, 1, v94
	v_add_nc_u16 v72, v83, v72
	v_add_nc_u16 v87, v93, v90
	v_add_lshl_u32 v180, v74, v81, 3
	v_lshrrev_b16 v74, 5, v86
	v_add_nc_u16 v73, v85, v73
	v_add_nc_u16 v88, v94, v88
	v_lshrrev_b16 v72, 5, v72
	v_add_lshl_u32 v179, v75, v84, 3
	v_lshlrev_b32_sdwa v177, v76, v80 dst_sel:DWORD dst_unused:UNUSED_PAD src0_sel:DWORD src1_sel:WORD_0
	v_lshrrev_b16 v75, 5, v87
	v_mul_lo_u16 v80, v74, 39
	v_lshrrev_b16 v73, 5, v73
	v_lshlrev_b32_sdwa v178, v76, v79 dst_sel:DWORD dst_unused:UNUSED_PAD src0_sel:DWORD src1_sel:WORD_0
	v_lshrrev_b16 v79, 5, v88
	v_and_b32_e32 v72, 7, v72
	v_mul_lo_u16 v81, v75, 39
	v_sub_nc_u16 v80, v78, v80
	v_and_b32_e32 v73, 7, v73
	v_lshlrev_b32_sdwa v176, v76, v82 dst_sel:DWORD dst_unused:UNUSED_PAD src0_sel:DWORD src1_sel:WORD_0
	v_mul_lo_u16 v82, v79, 39
	v_mul_lo_u16 v83, v72, 39
	v_sub_nc_u16 v81, v60, v81
	v_lshlrev_b16 v85, 4, v80
	v_mul_lo_u16 v84, v73, 39
	v_sub_nc_u16 v82, v61, v82
	v_sub_nc_u16 v83, v174, v83
	v_lshlrev_b16 v86, 4, v81
	v_and_b32_e32 v85, 0xffff, v85
	v_sub_nc_u16 v84, v77, v84
	v_lshlrev_b16 v87, 4, v82
	v_and_b32_e32 v83, 0xff, v83
	s_waitcnt vmcnt(0) lgkmcnt(0)
	s_barrier
	buffer_gl0_inv
	v_and_b32_e32 v86, 0xffff, v86
	v_and_b32_e32 v84, 0xff, v84
	;; [unrolled: 1-line block ×3, first 2 shown]
	v_lshlrev_b32_e32 v88, 4, v83
	v_mad_u16 v74, 0x75, v74, v80
	v_mad_u16 v75, 0x75, v75, v81
	v_lshlrev_b32_e32 v89, 4, v84
	v_mad_u16 v79, 0x75, v79, v82
	v_lshlrev_b32_e32 v77, 5, v77
	v_lshlrev_b32_sdwa v183, v76, v74 dst_sel:DWORD dst_unused:UNUSED_PAD src0_sel:DWORD src1_sel:WORD_0
	v_lshlrev_b32_sdwa v182, v76, v75 dst_sel:DWORD dst_unused:UNUSED_PAD src0_sel:DWORD src1_sel:WORD_0
	;; [unrolled: 1-line block ×3, first 2 shown]
	v_mul_f32_e32 v90, v39, v17
	v_mul_f32_e32 v91, v38, v17
	;; [unrolled: 1-line block ×12, first 2 shown]
	v_fma_f32 v38, v38, v16, -v90
	v_fmac_f32_e32 v91, v39, v16
	v_fma_f32 v39, v40, v18, -v92
	v_fmac_f32_e32 v93, v41, v18
	v_mul_f32_e32 v102, v67, v5
	v_mul_f32_e32 v103, v66, v5
	;; [unrolled: 1-line block ×8, first 2 shown]
	v_fma_f32 v40, v44, v12, -v94
	v_fmac_f32_e32 v95, v45, v12
	v_fma_f32 v41, v42, v14, -v96
	v_fmac_f32_e32 v97, v43, v14
	;; [unrolled: 2-line block ×8, first 2 shown]
	v_add_f32_e32 v63, v38, v39
	v_add_f32_e32 v66, v91, v93
	;; [unrolled: 1-line block ×7, first 2 shown]
	v_sub_f32_e32 v64, v91, v93
	v_add_f32_e32 v65, v33, v91
	v_sub_f32_e32 v67, v38, v39
	v_add_f32_e32 v102, v44, v46
	;; [unrolled: 2-line block ×3, first 2 shown]
	v_add_f32_e32 v103, v103, v105
	v_add_f32_e32 v115, v36, v45
	;; [unrolled: 1-line block ×3, first 2 shown]
	v_sub_f32_e32 v117, v112, v114
	v_add_f32_e32 v118, v37, v112
	v_add_f32_e32 v112, v112, v114
	v_fma_f32 v32, -0.5, v63, v32
	v_fma_f32 v33, -0.5, v66, v33
	v_add_f32_e32 v68, v34, v40
	v_sub_f32_e32 v70, v95, v97
	v_add_f32_e32 v71, v35, v95
	v_sub_f32_e32 v91, v40, v41
	v_fma_f32 v34, -0.5, v69, v34
	v_fmac_f32_e32 v35, -0.5, v90
	v_add_f32_e32 v92, v48, v42
	v_sub_f32_e32 v95, v99, v101
	v_add_f32_e32 v96, v49, v99
	v_sub_f32_e32 v99, v42, v43
	;; [unrolled: 2-line block ×3, first 2 shown]
	v_sub_f32_e32 v119, v45, v62
	v_fma_f32 v44, -0.5, v94, v48
	v_fma_f32 v45, -0.5, v98, v49
	v_add_f32_e32 v38, v47, v39
	v_add_f32_e32 v39, v65, v93
	v_fma_f32 v50, -0.5, v102, v50
	v_fmac_f32_e32 v51, -0.5, v103
	v_add_f32_e32 v48, v115, v62
	v_fma_f32 v36, -0.5, v116, v36
	v_fmac_f32_e32 v37, -0.5, v112
	v_fmamk_f32 v62, v64, 0x3f5db3d7, v32
	v_fmamk_f32 v63, v67, 0xbf5db3d7, v33
	v_fmac_f32_e32 v32, 0xbf5db3d7, v64
	v_fmac_f32_e32 v33, 0x3f5db3d7, v67
	v_add_f32_e32 v40, v68, v41
	v_add_f32_e32 v41, v71, v97
	v_fmamk_f32 v64, v70, 0x3f5db3d7, v34
	v_fmamk_f32 v65, v91, 0xbf5db3d7, v35
	v_fmac_f32_e32 v34, 0xbf5db3d7, v70
	v_fmac_f32_e32 v35, 0x3f5db3d7, v91
	v_add_f32_e32 v42, v92, v43
	v_add_f32_e32 v43, v96, v101
	v_fmamk_f32 v66, v95, 0x3f5db3d7, v44
	v_fmamk_f32 v67, v99, 0xbf5db3d7, v45
	v_add_f32_e32 v46, v100, v46
	v_add_f32_e32 v47, v111, v105
	;; [unrolled: 1-line block ×3, first 2 shown]
	v_fmac_f32_e32 v44, 0xbf5db3d7, v95
	v_fmac_f32_e32 v45, 0x3f5db3d7, v99
	v_fmamk_f32 v68, v104, 0x3f5db3d7, v50
	v_fmac_f32_e32 v50, 0xbf5db3d7, v104
	v_fmamk_f32 v69, v113, 0xbf5db3d7, v51
	;; [unrolled: 2-line block ×4, first 2 shown]
	v_fmac_f32_e32 v37, 0x3f5db3d7, v119
	ds_write2_b64 v180, v[38:39], v[62:63] offset1:13
	ds_write_b64 v180, v[32:33] offset:208
	ds_write2_b64 v179, v[40:41], v[64:65] offset1:13
	ds_write_b64 v179, v[34:35] offset:208
	;; [unrolled: 2-line block ×5, first 2 shown]
	v_add_co_u32 v32, s0, s4, v85
	v_add_co_ci_u32_e64 v33, null, s5, 0, s0
	v_add_co_u32 v34, s0, s4, v86
	s_waitcnt lgkmcnt(0)
	s_barrier
	buffer_gl0_inv
	v_add_co_ci_u32_e64 v35, null, s5, 0, s0
	global_load_dwordx4 v[40:43], v[32:33], off offset:208
	v_add_co_u32 v32, s0, s4, v87
	s_clause 0x1
	global_load_dwordx4 v[48:51], v88, s[4:5] offset:208
	global_load_dwordx4 v[44:47], v89, s[4:5] offset:208
	v_add_co_ci_u32_e64 v33, null, s5, 0, s0
	s_clause 0x1
	global_load_dwordx4 v[36:39], v[34:35], off offset:208
	global_load_dwordx4 v[32:35], v[32:33], off offset:208
	v_mov_b32_e32 v62, 0x8c09
	v_mov_b32_e32 v85, 0x75
	ds_read2_b64 v[68:71], v108 offset0:62 offset1:179
	v_lshlrev_b32_e32 v96, 4, v174
	v_mul_u32_u24_sdwa v63, v78, v62 dst_sel:DWORD dst_unused:UNUSED_PAD src0_sel:WORD_0 src1_sel:DWORD
	v_mul_u32_u24_sdwa v64, v60, v62 dst_sel:DWORD dst_unused:UNUSED_PAD src0_sel:WORD_0 src1_sel:DWORD
	;; [unrolled: 1-line block ×5, first 2 shown]
	v_lshrrev_b32_e32 v63, 22, v63
	v_lshrrev_b32_e32 v64, 22, v64
	;; [unrolled: 1-line block ×3, first 2 shown]
	ds_read2_b64 v[72:75], v120 offset0:124 offset1:241
	v_add_lshl_u32 v185, v80, v83, 3
	v_mul_lo_u16 v63, 0x75, v63
	v_mul_lo_u16 v64, 0x75, v64
	;; [unrolled: 1-line block ×3, first 2 shown]
	ds_read2_b64 v[79:82], v109 offset0:40 offset1:157
	v_add_lshl_u32 v184, v85, v84, 3
	v_sub_nc_u16 v93, v78, v63
	v_sub_nc_u16 v94, v60, v64
	;; [unrolled: 1-line block ×3, first 2 shown]
	ds_read2_b64 v[64:67], v106 offset0:18 offset1:135
	v_lshlrev_b16 v60, 4, v93
	v_lshlrev_b16 v61, 4, v94
	v_lshlrev_b16 v62, 4, v95
	v_lshlrev_b32_sdwa v187, v76, v94 dst_sel:DWORD dst_unused:UNUSED_PAD src0_sel:DWORD src1_sel:WORD_0
	v_lshlrev_b32_sdwa v188, v76, v95 dst_sel:DWORD dst_unused:UNUSED_PAD src0_sel:DWORD src1_sel:WORD_0
	v_and_b32_e32 v97, 0xffff, v60
	v_and_b32_e32 v98, 0xffff, v61
	;; [unrolled: 1-line block ×3, first 2 shown]
	ds_read2_b64 v[60:63], v107 offset0:84 offset1:201
	ds_read2_b64 v[83:86], v173 offset1:117
	ds_read2_b64 v[87:90], v110 offset0:106 offset1:223
	ds_read_b64 v[91:92], v173 offset:13104
	s_waitcnt vmcnt(0) lgkmcnt(0)
	s_barrier
	buffer_gl0_inv
	v_mul_f32_e32 v113, v71, v41
	v_mul_f32_e32 v114, v70, v41
	;; [unrolled: 1-line block ×20, first 2 shown]
	v_fma_f32 v62, v62, v48, -v100
	v_fmac_f32_e32 v101, v63, v48
	v_fma_f32 v63, v64, v50, -v102
	v_fmac_f32_e32 v103, v65, v50
	;; [unrolled: 2-line block ×6, first 2 shown]
	v_fma_f32 v72, v74, v38, -v119
	v_fma_f32 v69, v81, v32, -v122
	v_fma_f32 v74, v91, v34, -v124
	v_fma_f32 v67, v79, v36, -v117
	v_fmac_f32_e32 v118, v80, v36
	v_fmac_f32_e32 v121, v75, v38
	;; [unrolled: 1-line block ×4, first 2 shown]
	v_add_f32_e32 v71, v62, v63
	v_add_f32_e32 v75, v101, v103
	;; [unrolled: 1-line block ×8, first 2 shown]
	v_sub_f32_e32 v80, v101, v103
	v_add_f32_e32 v73, v84, v101
	v_sub_f32_e32 v81, v62, v63
	v_add_f32_e32 v79, v85, v64
	;; [unrolled: 2-line block ×7, first 2 shown]
	v_add_f32_e32 v118, v118, v121
	v_sub_f32_e32 v171, v123, v125
	v_add_f32_e32 v172, v61, v123
	v_add_f32_e32 v123, v123, v125
	v_fma_f32 v64, -0.5, v71, v83
	v_fma_f32 v65, -0.5, v75, v84
	;; [unrolled: 1-line block ×3, first 2 shown]
	v_fmac_f32_e32 v86, -0.5, v100
	v_add_f32_e32 v126, v60, v69
	v_add_f32_e32 v62, v70, v63
	v_fma_f32 v70, -0.5, v104, v87
	v_fma_f32 v71, -0.5, v113, v88
	;; [unrolled: 1-line block ×3, first 2 shown]
	v_add_f32_e32 v115, v89, v67
	v_sub_f32_e32 v124, v67, v72
	v_sub_f32_e32 v186, v69, v74
	v_add_f32_e32 v63, v73, v103
	v_add_f32_e32 v66, v79, v66
	v_fma_f32 v89, -0.5, v117, v89
	v_fmac_f32_e32 v90, -0.5, v118
	v_fmac_f32_e32 v61, -0.5, v123
	v_fmamk_f32 v79, v80, 0x3f5db3d7, v64
	v_fmac_f32_e32 v64, 0xbf5db3d7, v80
	v_fmamk_f32 v80, v81, 0xbf5db3d7, v65
	v_fmac_f32_e32 v65, 0x3f5db3d7, v81
	v_add_f32_e32 v67, v92, v112
	v_fmamk_f32 v81, v91, 0x3f5db3d7, v85
	v_fmamk_f32 v82, v101, 0xbf5db3d7, v86
	v_fmac_f32_e32 v85, 0xbf5db3d7, v91
	v_fmac_f32_e32 v86, 0x3f5db3d7, v101
	v_add_f32_e32 v68, v102, v68
	v_add_f32_e32 v69, v111, v116
	v_fmamk_f32 v83, v105, 0x3f5db3d7, v70
	v_fmamk_f32 v84, v114, 0xbf5db3d7, v71
	v_fmamk_f32 v91, v171, 0x3f5db3d7, v60
	v_fmac_f32_e32 v60, 0xbf5db3d7, v171
	v_add_f32_e32 v72, v115, v72
	v_add_f32_e32 v73, v122, v121
	v_add_f32_e32 v74, v126, v74
	v_add_f32_e32 v75, v172, v125
	v_fmac_f32_e32 v70, 0xbf5db3d7, v105
	v_fmac_f32_e32 v71, 0x3f5db3d7, v114
	v_fmamk_f32 v87, v119, 0x3f5db3d7, v89
	v_fmac_f32_e32 v89, 0xbf5db3d7, v119
	v_fmamk_f32 v88, v124, 0xbf5db3d7, v90
	;; [unrolled: 2-line block ×3, first 2 shown]
	v_fmac_f32_e32 v61, 0x3f5db3d7, v186
	ds_write2_b64 v185, v[62:63], v[79:80] offset1:39
	ds_write_b64 v185, v[64:65] offset:624
	ds_write2_b64 v184, v[66:67], v[81:82] offset1:39
	ds_write_b64 v184, v[85:86] offset:624
	;; [unrolled: 2-line block ×5, first 2 shown]
	v_add_co_u32 v60, s0, s4, v97
	v_add_co_ci_u32_e64 v61, null, s5, 0, s0
	v_add_co_u32 v62, s0, s4, v98
	s_waitcnt lgkmcnt(0)
	s_barrier
	buffer_gl0_inv
	s_clause 0x1
	global_load_dwordx4 v[72:75], v96, s[4:5] offset:832
	global_load_dwordx4 v[68:71], v[60:61], off offset:832
	v_add_co_ci_u32_e64 v63, null, s5, 0, s0
	v_add_co_u32 v60, s0, s4, v99
	v_add_co_ci_u32_e64 v61, null, s5, 0, s0
	s_clause 0x1
	global_load_dwordx4 v[64:67], v[62:63], off offset:832
	global_load_dwordx4 v[60:63], v[60:61], off offset:832
	v_lshlrev_b32_e32 v79, 5, v174
	v_lshlrev_b32_e32 v105, 5, v78
	v_lshlrev_b32_sdwa v186, v76, v93 dst_sel:DWORD dst_unused:UNUSED_PAD src0_sel:DWORD src1_sel:WORD_0
	v_add_nc_u32_e32 v119, 0x2000, v187
	v_add_nc_u32_e32 v123, 0x2800, v188
	v_add_co_u32 v79, s0, s4, v79
	v_add_co_ci_u32_e64 v80, null, s5, 0, s0
	v_add_co_u32 v89, s0, s4, v77
	v_add_co_ci_u32_e64 v90, null, s5, 0, s0
	v_add_co_u32 v111, s0, 0xa90, v79
	v_add_co_ci_u32_e64 v112, s0, 0, v80, s0
	v_add_co_u32 v113, s0, 0x800, v79
	v_add_co_ci_u32_e64 v114, s0, 0, v80, s0
	;; [unrolled: 2-line block ×3, first 2 shown]
	ds_read2_b64 v[77:80], v107 offset0:84 offset1:201
	ds_read2_b64 v[81:84], v106 offset0:18 offset1:135
	;; [unrolled: 1-line block ×3, first 2 shown]
	v_add_co_u32 v117, s0, 0x800, v89
	v_add_co_ci_u32_e64 v118, s0, 0, v90, s0
	ds_read2_b64 v[89:92], v120 offset0:124 offset1:241
	ds_read2_b64 v[93:96], v109 offset0:40 offset1:157
	ds_read2_b64 v[97:100], v173 offset1:117
	ds_read2_b64 v[101:104], v110 offset0:106 offset1:223
	ds_read_b64 v[121:122], v173 offset:13104
	v_add_nc_u32_e32 v76, 0x1400, v186
	s_waitcnt vmcnt(0) lgkmcnt(0)
	s_barrier
	buffer_gl0_inv
	v_mul_f32_e32 v124, v80, v73
	v_mul_f32_e32 v125, v79, v73
	;; [unrolled: 1-line block ×20, first 2 shown]
	v_fma_f32 v79, v79, v72, -v124
	v_fmac_f32_e32 v125, v80, v72
	v_fma_f32 v80, v81, v74, -v126
	v_fmac_f32_e32 v127, v82, v74
	;; [unrolled: 2-line block ×6, first 2 shown]
	v_fmac_f32_e32 v201, v96, v60
	v_fmac_f32_e32 v203, v122, v62
	v_fma_f32 v84, v93, v64, -v196
	v_fmac_f32_e32 v197, v94, v64
	v_fma_f32 v89, v91, v66, -v198
	;; [unrolled: 2-line block ×3, first 2 shown]
	v_fma_f32 v91, v121, v62, -v202
	v_add_f32_e32 v88, v79, v80
	v_add_f32_e32 v92, v125, v127
	;; [unrolled: 1-line block ×7, first 2 shown]
	v_sub_f32_e32 v206, v201, v203
	v_add_f32_e32 v207, v78, v201
	v_add_f32_e32 v201, v201, v203
	v_sub_f32_e32 v94, v125, v127
	v_add_f32_e32 v90, v98, v125
	v_sub_f32_e32 v95, v79, v80
	;; [unrolled: 2-line block ×7, first 2 shown]
	v_add_f32_e32 v200, v104, v197
	v_add_f32_e32 v197, v197, v199
	;; [unrolled: 1-line block ×3, first 2 shown]
	v_fma_f32 v81, -0.5, v88, v97
	v_fma_f32 v82, -0.5, v92, v98
	;; [unrolled: 1-line block ×3, first 2 shown]
	v_fmac_f32_e32 v100, -0.5, v124
	v_add_f32_e32 v79, v87, v80
	v_fma_f32 v87, -0.5, v171, v101
	v_fma_f32 v88, -0.5, v192, v102
	v_sub_f32_e32 v208, v86, v91
	v_fmac_f32_e32 v78, -0.5, v201
	v_add_f32_e32 v194, v103, v84
	v_sub_f32_e32 v202, v84, v89
	v_add_f32_e32 v204, v77, v86
	v_add_f32_e32 v80, v90, v127
	;; [unrolled: 1-line block ×3, first 2 shown]
	v_fma_f32 v103, -0.5, v196, v103
	v_fmac_f32_e32 v104, -0.5, v197
	v_fma_f32 v77, -0.5, v205, v77
	v_fmamk_f32 v93, v94, 0x3f5db3d7, v81
	v_fmac_f32_e32 v81, 0xbf5db3d7, v94
	v_fmamk_f32 v94, v95, 0xbf5db3d7, v82
	v_add_f32_e32 v84, v122, v191
	v_fmac_f32_e32 v82, 0x3f5db3d7, v95
	v_fmamk_f32 v95, v121, 0x3f5db3d7, v99
	v_fmac_f32_e32 v99, 0xbf5db3d7, v121
	v_fmamk_f32 v96, v125, 0xbf5db3d7, v100
	v_fmac_f32_e32 v100, 0x3f5db3d7, v125
	v_add_f32_e32 v85, v126, v85
	v_add_f32_e32 v86, v190, v195
	v_fmamk_f32 v97, v172, 0x3f5db3d7, v87
	v_fmamk_f32 v98, v193, 0xbf5db3d7, v88
	v_fmac_f32_e32 v87, 0xbf5db3d7, v172
	v_fmac_f32_e32 v88, 0x3f5db3d7, v193
	v_fmamk_f32 v122, v208, 0xbf5db3d7, v78
	v_fmac_f32_e32 v78, 0x3f5db3d7, v208
	v_add_f32_e32 v89, v194, v89
	v_add_f32_e32 v90, v200, v199
	v_add_f32_e32 v91, v204, v91
	v_add_f32_e32 v92, v207, v203
	v_fmamk_f32 v101, v198, 0x3f5db3d7, v103
	v_fmac_f32_e32 v103, 0xbf5db3d7, v198
	v_fmamk_f32 v102, v202, 0xbf5db3d7, v104
	v_fmac_f32_e32 v104, 0x3f5db3d7, v202
	;; [unrolled: 2-line block ×3, first 2 shown]
	ds_write2_b64 v173, v[79:80], v[93:94] offset1:117
	ds_write2_b64 v110, v[81:82], v[83:84] offset0:106 offset1:223
	ds_write2_b64 v107, v[95:96], v[99:100] offset0:84 offset1:201
	;; [unrolled: 1-line block ×3, first 2 shown]
	ds_write_b64 v186, v[87:88] offset:7488
	ds_write2_b64 v119, v[89:90], v[101:102] offset0:29 offset1:146
	ds_write_b64 v187, v[103:104] offset:10296
	ds_write2_b64 v123, v[91:92], v[121:122] offset0:124 offset1:241
	ds_write_b64 v188, v[77:78] offset:13104
	v_add_co_u32 v78, s0, s4, v105
	v_add_co_ci_u32_e64 v79, null, s5, 0, s0
	s_waitcnt lgkmcnt(0)
	v_add_co_u32 v76, s0, 0x800, v78
	v_add_co_ci_u32_e64 v77, s0, 0, v79, s0
	v_add_co_u32 v78, s0, 0xa90, v78
	v_add_co_ci_u32_e64 v79, s0, 0, v79, s0
	s_barrier
	buffer_gl0_inv
	s_clause 0x5
	global_load_dwordx4 v[96:99], v[113:114], off offset:656
	global_load_dwordx4 v[92:95], v[111:112], off offset:16
	;; [unrolled: 1-line block ×6, first 2 shown]
	ds_read2_b64 v[100:103], v110 offset0:106 offset1:223
	ds_read2_b64 v[111:114], v108 offset0:62 offset1:179
	;; [unrolled: 1-line block ×6, first 2 shown]
	ds_read2_b64 v[198:201], v173 offset1:117
	ds_read_b64 v[125:126], v173 offset:13104
	v_add_co_u32 v104, s0, 0x36d8, v138
	v_add_co_ci_u32_e64 v105, s0, 0, v139, s0
	s_waitcnt vmcnt(5) lgkmcnt(7)
	v_mul_f32_e32 v119, v103, v97
	v_mul_f32_e32 v127, v102, v97
	s_waitcnt lgkmcnt(6)
	v_mul_f32_e32 v171, v112, v99
	v_mul_f32_e32 v172, v111, v99
	s_waitcnt vmcnt(4) lgkmcnt(5)
	v_mul_f32_e32 v202, v118, v93
	v_mul_f32_e32 v203, v117, v93
	s_waitcnt lgkmcnt(4)
	v_mul_f32_e32 v204, v122, v95
	v_mul_f32_e32 v205, v121, v95
	s_waitcnt vmcnt(3) lgkmcnt(3)
	v_mul_f32_e32 v206, v191, v89
	v_mul_f32_e32 v207, v190, v89
	;; [unrolled: 1-line block ×4, first 2 shown]
	s_waitcnt vmcnt(2) lgkmcnt(2)
	v_mul_f32_e32 v210, v195, v81
	v_mul_f32_e32 v211, v194, v81
	;; [unrolled: 1-line block ×4, first 2 shown]
	s_waitcnt vmcnt(1)
	v_mul_f32_e32 v214, v193, v85
	v_mul_f32_e32 v215, v192, v85
	;; [unrolled: 1-line block ×4, first 2 shown]
	s_waitcnt vmcnt(0)
	v_mul_f32_e32 v218, v197, v77
	v_mul_f32_e32 v219, v196, v77
	s_waitcnt lgkmcnt(0)
	v_mul_f32_e32 v220, v126, v79
	v_mul_f32_e32 v221, v125, v79
	v_fma_f32 v171, v111, v98, -v171
	v_fmac_f32_e32 v172, v112, v98
	v_fma_f32 v208, v113, v90, -v208
	v_fmac_f32_e32 v209, v114, v90
	;; [unrolled: 2-line block ×12, first 2 shown]
	v_add_f32_e32 v112, v171, v117
	v_sub_f32_e32 v113, v102, v171
	v_sub_f32_e32 v114, v119, v117
	v_add_f32_e32 v115, v102, v119
	v_sub_f32_e32 v116, v171, v102
	v_sub_f32_e32 v123, v117, v119
	;; [unrolled: 3-line block ×3, first 2 shown]
	v_add_f32_e32 v190, v127, v205
	v_add_f32_e32 v193, v200, v103
	;; [unrolled: 1-line block ×15, first 2 shown]
	v_sub_f32_e32 v197, v103, v208
	v_sub_f32_e32 v202, v194, v118
	;; [unrolled: 1-line block ×10, first 2 shown]
	v_add_f32_e32 v249, v113, v114
	v_add_f32_e32 v250, v116, v123
	v_fma_f32 v111, -0.5, v112, v198
	v_fma_f32 v112, -0.5, v124, v199
	v_add_f32_e32 v251, v125, v126
	v_fma_f32 v113, -0.5, v115, v198
	v_fma_f32 v114, -0.5, v190, v199
	;; [unrolled: 1-line block ×5, first 2 shown]
	v_fmac_f32_e32 v201, -0.5, v220
	v_add_f32_e32 v124, v240, v172
	v_add_f32_e32 v125, v193, v208
	;; [unrolled: 1-line block ×4, first 2 shown]
	v_sub_f32_e32 v191, v172, v127
	v_sub_f32_e32 v192, v203, v205
	;; [unrolled: 1-line block ×8, first 2 shown]
	v_add_f32_e32 v123, v238, v171
	v_sub_f32_e32 v206, v208, v103
	v_sub_f32_e32 v232, v215, v217
	;; [unrolled: 1-line block ×4, first 2 shown]
	v_fma_f32 v102, -0.5, v224, v100
	v_fma_f32 v103, -0.5, v231, v101
	v_add_f32_e32 v171, v235, v217
	v_sub_f32_e32 v246, v217, v219
	v_fma_f32 v100, -0.5, v227, v100
	v_fmac_f32_e32 v101, -0.5, v234
	v_sub_f32_e32 v210, v118, v194
	v_sub_f32_e32 v223, v211, v213
	;; [unrolled: 1-line block ×4, first 2 shown]
	v_add_f32_e32 v199, v197, v202
	v_add_f32_e32 v193, v124, v203
	;; [unrolled: 1-line block ×5, first 2 shown]
	v_fmamk_f32 v121, v241, 0xbf737871, v113
	v_fmamk_f32 v122, v239, 0x3f737871, v114
	;; [unrolled: 1-line block ×4, first 2 shown]
	v_sub_f32_e32 v218, v213, v211
	v_add_f32_e32 v198, v191, v192
	v_add_f32_e32 v192, v123, v117
	v_fmamk_f32 v117, v127, 0x3f737871, v111
	v_fmac_f32_e32 v111, 0xbf737871, v127
	v_fmamk_f32 v118, v245, 0xbf737871, v112
	v_fmac_f32_e32 v112, 0x3f737871, v245
	;; [unrolled: 2-line block ×4, first 2 shown]
	v_sub_f32_e32 v233, v221, v219
	v_add_f32_e32 v208, v171, v219
	v_fmac_f32_e32 v114, 0xbf737871, v239
	v_fmamk_f32 v171, v215, 0x3f737871, v102
	v_fmamk_f32 v172, v248, 0xbf737871, v103
	v_sub_f32_e32 v237, v219, v221
	v_fmac_f32_e32 v113, 0x3f737871, v241
	v_fmac_f32_e32 v200, 0x3f737871, v243
	;; [unrolled: 1-line block ×4, first 2 shown]
	v_fmamk_f32 v190, v246, 0xbf737871, v100
	v_fmac_f32_e32 v100, 0x3f737871, v246
	v_fmac_f32_e32 v103, 0x3f737871, v248
	v_fmamk_f32 v191, v244, 0x3f737871, v101
	v_fmac_f32_e32 v101, 0xbf737871, v244
	v_add_f32_e32 v202, v206, v210
	v_add_f32_e32 v206, v222, v223
	v_fmac_f32_e32 v121, 0x3f167918, v127
	v_fmac_f32_e32 v122, 0xbf167918, v245
	;; [unrolled: 1-line block ×4, first 2 shown]
	v_add_f32_e32 v204, v216, v218
	v_fmac_f32_e32 v111, 0xbf167918, v241
	v_fmac_f32_e32 v112, 0x3f167918, v239
	;; [unrolled: 1-line block ×6, first 2 shown]
	v_add_f32_e32 v210, v225, v226
	v_add_f32_e32 v216, v232, v233
	v_fmac_f32_e32 v114, 0x3f167918, v245
	v_fmac_f32_e32 v123, 0x3f167918, v243
	;; [unrolled: 1-line block ×5, first 2 shown]
	v_add_f32_e32 v214, v229, v230
	v_add_f32_e32 v218, v236, v237
	;; [unrolled: 1-line block ×4, first 2 shown]
	v_fmac_f32_e32 v113, 0xbf167918, v127
	v_add_f32_e32 v194, v195, v194
	v_add_f32_e32 v195, v197, v213
	v_fmac_f32_e32 v200, 0xbf167918, v207
	v_fmac_f32_e32 v201, 0x3f167918, v247
	;; [unrolled: 1-line block ×16, first 2 shown]
	v_add_f32_e32 v196, v203, v196
	v_add_f32_e32 v197, v208, v221
	v_fmac_f32_e32 v117, 0x3e9e377a, v249
	v_fmac_f32_e32 v118, 0x3e9e377a, v251
	;; [unrolled: 1-line block ×16, first 2 shown]
	ds_write2_b64 v173, v[192:193], v[194:195] offset1:117
	ds_write2_b64 v108, v[121:122], v[125:126] offset0:62 offset1:179
	ds_write2_b64 v120, v[111:112], v[115:116] offset0:124 offset1:241
	;; [unrolled: 1-line block ×6, first 2 shown]
	ds_write_b64 v173, v[102:103] offset:13104
	s_waitcnt lgkmcnt(0)
	s_barrier
	buffer_gl0_inv
	s_clause 0x1
	global_load_dwordx2 v[114:115], v[128:129], off offset:1752
	global_load_dwordx2 v[116:117], v[104:105], off offset:1080
	v_add_co_u32 v110, s0, 0x3800, v138
	v_add_co_ci_u32_e64 v111, s0, 0, v139, s0
	v_add_co_u32 v112, s0, 0x4000, v138
	v_add_co_ci_u32_e64 v113, s0, 0, v139, s0
	;; [unrolled: 2-line block ×5, first 2 shown]
	s_clause 0x3
	global_load_dwordx2 v[125:126], v[110:111], off offset:1864
	global_load_dwordx2 v[171:172], v[112:113], off offset:896
	;; [unrolled: 1-line block ×4, first 2 shown]
	v_add_co_u32 v110, s0, 0x6000, v138
	v_add_co_ci_u32_e64 v111, s0, 0, v139, s0
	v_add_co_u32 v112, s0, 0x6800, v138
	v_add_co_ci_u32_e64 v113, s0, 0, v139, s0
	s_clause 0x6
	global_load_dwordx2 v[204:205], v[121:122], off offset:40
	global_load_dwordx2 v[206:207], v[121:122], off offset:1120
	;; [unrolled: 1-line block ×7, first 2 shown]
	ds_read2_b64 v[110:113], v173 offset1:135
	s_waitcnt vmcnt(12) lgkmcnt(0)
	v_mul_f32_e32 v121, v111, v115
	v_mul_f32_e32 v122, v110, v115
	s_waitcnt vmcnt(11)
	v_mul_f32_e32 v123, v113, v117
	v_mul_f32_e32 v115, v112, v117
	v_fma_f32 v121, v110, v114, -v121
	v_fmac_f32_e32 v122, v111, v114
	v_fma_f32 v114, v112, v116, -v123
	v_fmac_f32_e32 v115, v113, v116
	v_add_nc_u32_e32 v110, 0x800, v173
	v_add_nc_u32_e32 v111, 0x1000, v173
	;; [unrolled: 1-line block ×4, first 2 shown]
	ds_write2_b64 v173, v[121:122], v[114:115] offset1:135
	ds_read2_b64 v[114:117], v110 offset0:14 offset1:149
	ds_read2_b64 v[121:124], v111 offset0:28 offset1:163
	;; [unrolled: 1-line block ×5, first 2 shown]
	ds_read_b64 v[218:219], v173 offset:12960
	s_waitcnt vmcnt(6) lgkmcnt(3)
	v_mul_f32_e32 v225, v191, v205
	v_mul_f32_e32 v220, v115, v126
	;; [unrolled: 1-line block ×10, first 2 shown]
	s_waitcnt vmcnt(5)
	v_mul_f32_e32 v226, v193, v207
	v_mul_f32_e32 v205, v192, v207
	s_waitcnt vmcnt(4) lgkmcnt(2)
	v_mul_f32_e32 v227, v195, v209
	v_mul_f32_e32 v207, v194, v209
	s_waitcnt vmcnt(3)
	v_mul_f32_e32 v228, v197, v211
	v_mul_f32_e32 v209, v196, v211
	s_waitcnt vmcnt(2) lgkmcnt(1)
	v_mul_f32_e32 v229, v199, v213
	v_mul_f32_e32 v211, v198, v213
	;; [unrolled: 6-line block ×3, first 2 shown]
	v_fma_f32 v126, v114, v125, -v220
	v_fmac_f32_e32 v127, v115, v125
	v_fma_f32 v220, v116, v171, -v222
	v_fmac_f32_e32 v221, v117, v171
	;; [unrolled: 2-line block ×11, first 2 shown]
	ds_write2_b64 v110, v[126:127], v[220:221] offset0:14 offset1:149
	ds_write2_b64 v111, v[171:172], v[202:203] offset0:28 offset1:163
	;; [unrolled: 1-line block ×5, first 2 shown]
	ds_write_b64 v173, v[214:215] offset:12960
	s_and_saveexec_b32 s1, vcc_lo
	s_cbranch_execz .LBB0_9
; %bb.8:
	s_clause 0x1
	global_load_dwordx2 v[118:119], v[104:105], off offset:936
	global_load_dwordx2 v[121:122], v[104:105], off offset:2016
	v_add_co_u32 v114, s0, 0x800, v104
	v_add_co_ci_u32_e64 v115, s0, 0, v105, s0
	v_add_co_u32 v116, s0, 0x1000, v104
	v_add_co_ci_u32_e64 v117, s0, 0, v105, s0
	;; [unrolled: 2-line block ×4, first 2 shown]
	s_clause 0x2
	global_load_dwordx2 v[171:172], v[114:115], off offset:1048
	global_load_dwordx2 v[202:203], v[116:117], off offset:80
	;; [unrolled: 1-line block ×3, first 2 shown]
	v_add_co_u32 v114, s0, 0x2800, v104
	v_add_co_ci_u32_e64 v115, s0, 0, v105, s0
	v_add_co_u32 v104, s0, 0x3000, v104
	v_add_co_ci_u32_e64 v105, s0, 0, v105, s0
	s_clause 0x7
	global_load_dwordx2 v[206:207], v[123:124], off offset:192
	global_load_dwordx2 v[208:209], v[123:124], off offset:1272
	;; [unrolled: 1-line block ×8, first 2 shown]
	ds_read2_b64 v[114:117], v173 offset0:117 offset1:252
	v_add_nc_u32_e32 v221, 0x2c00, v173
	s_waitcnt vmcnt(12) lgkmcnt(0)
	v_mul_f32_e32 v124, v115, v119
	v_mul_f32_e32 v123, v114, v119
	s_waitcnt vmcnt(11)
	v_mul_f32_e32 v127, v117, v122
	v_mul_f32_e32 v119, v116, v122
	v_fma_f32 v122, v114, v118, -v124
	v_fmac_f32_e32 v123, v115, v118
	v_fma_f32 v118, v116, v121, -v127
	v_fmac_f32_e32 v119, v117, v121
	ds_write2_b64 v173, v[122:123], v[118:119] offset0:117 offset1:252
	ds_read2_b64 v[114:117], v107 offset0:3 offset1:138
	ds_read2_b64 v[121:124], v108 offset0:17 offset1:152
	;; [unrolled: 1-line block ×5, first 2 shown]
	ds_read_b64 v[118:119], v173 offset:13896
	s_waitcnt vmcnt(10) lgkmcnt(5)
	v_mul_f32_e32 v219, v115, v172
	v_mul_f32_e32 v127, v114, v172
	s_waitcnt vmcnt(9)
	v_mul_f32_e32 v222, v117, v203
	v_mul_f32_e32 v172, v116, v203
	s_waitcnt vmcnt(8) lgkmcnt(4)
	v_mul_f32_e32 v223, v122, v205
	v_mul_f32_e32 v203, v121, v205
	s_waitcnt vmcnt(7)
	v_mul_f32_e32 v224, v124, v207
	v_mul_f32_e32 v205, v123, v207
	;; [unrolled: 6-line block ×5, first 2 shown]
	s_waitcnt vmcnt(0) lgkmcnt(0)
	v_mul_f32_e32 v231, v119, v105
	v_mul_f32_e32 v220, v118, v105
	v_fma_f32 v126, v114, v171, -v219
	v_fmac_f32_e32 v127, v115, v171
	v_fma_f32 v171, v116, v202, -v222
	v_fmac_f32_e32 v172, v117, v202
	;; [unrolled: 2-line block ×11, first 2 shown]
	ds_write2_b64 v107, v[126:127], v[171:172] offset0:3 offset1:138
	ds_write2_b64 v108, v[202:203], v[204:205] offset0:17 offset1:152
	;; [unrolled: 1-line block ×5, first 2 shown]
	ds_write_b64 v173, v[219:220] offset:13896
.LBB0_9:
	s_or_b32 exec_lo, exec_lo, s1
	s_waitcnt lgkmcnt(0)
	s_barrier
	buffer_gl0_inv
	ds_read2_b64 v[124:127], v173 offset1:135
	ds_read2_b64 v[116:119], v110 offset0:14 offset1:149
	ds_read2_b64 v[108:111], v111 offset0:28 offset1:163
	;; [unrolled: 1-line block ×5, first 2 shown]
	ds_read_b64 v[171:172], v173 offset:12960
	s_and_saveexec_b32 s0, vcc_lo
	s_cbranch_execz .LBB0_11
; %bb.10:
	v_add_nc_u32_e32 v20, 0xc00, v173
	v_add_nc_u32_e32 v21, 0x1400, v173
	;; [unrolled: 1-line block ×5, first 2 shown]
	ds_read2_b64 v[100:103], v173 offset0:117 offset1:252
	ds_read2_b64 v[24:27], v20 offset0:3 offset1:138
	;; [unrolled: 1-line block ×6, first 2 shown]
	ds_read_b64 v[169:170], v173 offset:13896
.LBB0_11:
	s_or_b32 exec_lo, exec_lo, s0
	s_waitcnt lgkmcnt(6)
	v_add_f32_e32 v190, v124, v126
	v_add_f32_e32 v191, v125, v127
	s_waitcnt lgkmcnt(0)
	v_sub_f32_e32 v193, v127, v172
	v_add_f32_e32 v194, v172, v127
	v_add_f32_e32 v192, v171, v126
	v_add_f32_e32 v190, v190, v116
	v_add_f32_e32 v191, v191, v117
	v_sub_f32_e32 v195, v126, v171
	v_mul_f32_e32 v126, 0xbeedf032, v193
	v_mul_f32_e32 v196, 0xbf52af12, v193
	v_add_f32_e32 v127, v190, v118
	v_add_f32_e32 v190, v191, v119
	v_mul_f32_e32 v191, 0x3f62ad3f, v194
	v_fmamk_f32 v201, v192, 0x3f62ad3f, v126
	v_fma_f32 v126, 0x3f62ad3f, v192, -v126
	v_add_f32_e32 v127, v127, v108
	v_add_f32_e32 v190, v190, v109
	v_mul_f32_e32 v197, 0x3f116cb1, v194
	v_mul_f32_e32 v198, 0xbf7e222b, v193
	v_add_f32_e32 v207, v124, v126
	v_add_f32_e32 v127, v127, v110
	;; [unrolled: 1-line block ×3, first 2 shown]
	v_mul_f32_e32 v199, 0x3df6dbef, v194
	v_sub_f32_e32 v213, v117, v123
	v_mul_f32_e32 v200, 0xbf6f5d39, v193
	v_add_f32_e32 v127, v127, v104
	v_add_f32_e32 v190, v190, v105
	v_fmamk_f32 v202, v195, 0x3eedf032, v191
	v_fmac_f32_e32 v191, 0xbeedf032, v195
	v_fmamk_f32 v203, v192, 0x3f116cb1, v196
	v_add_f32_e32 v127, v127, v106
	v_add_f32_e32 v190, v190, v107
	v_fmamk_f32 v204, v195, 0x3f52af12, v197
	v_fmamk_f32 v205, v192, 0x3df6dbef, v198
	;; [unrolled: 1-line block ×3, first 2 shown]
	v_add_f32_e32 v127, v127, v112
	v_add_f32_e32 v190, v190, v113
	v_mul_f32_e32 v208, 0xbf29c268, v193
	v_mul_f32_e32 v209, 0xbf3f9e67, v194
	;; [unrolled: 1-line block ×3, first 2 shown]
	v_add_f32_e32 v127, v127, v114
	v_add_f32_e32 v190, v190, v115
	;; [unrolled: 1-line block ×3, first 2 shown]
	v_mul_f32_e32 v216, 0xbf52af12, v213
	v_add_f32_e32 v117, v123, v117
	v_add_f32_e32 v126, v127, v120
	;; [unrolled: 1-line block ×3, first 2 shown]
	v_fma_f32 v196, 0x3f116cb1, v192, -v196
	v_fmac_f32_e32 v197, 0xbf52af12, v195
	v_fma_f32 v198, 0x3df6dbef, v192, -v198
	v_add_f32_e32 v126, v126, v122
	v_add_f32_e32 v127, v127, v123
	v_fmac_f32_e32 v199, 0xbf7e222b, v195
	v_add_f32_e32 v201, v124, v201
	v_add_f32_e32 v190, v125, v191
	;; [unrolled: 1-line block ×4, first 2 shown]
	v_mul_f32_e32 v172, 0xbeb58ec6, v194
	v_mul_f32_e32 v194, 0xbf788fa5, v194
	v_add_f32_e32 v203, v125, v204
	v_add_f32_e32 v204, v124, v205
	;; [unrolled: 1-line block ×3, first 2 shown]
	v_fmamk_f32 v171, v192, 0xbeb58ec6, v200
	v_add_f32_e32 v205, v125, v206
	v_fmamk_f32 v206, v195, 0x3f6f5d39, v172
	v_fma_f32 v200, 0xbeb58ec6, v192, -v200
	v_fmac_f32_e32 v172, 0xbf6f5d39, v195
	v_fmamk_f32 v210, v192, 0xbf3f9e67, v208
	v_fmamk_f32 v211, v195, 0x3f29c268, v209
	v_fma_f32 v208, 0xbf3f9e67, v192, -v208
	v_fmac_f32_e32 v209, 0xbf29c268, v195
	v_fmamk_f32 v212, v192, 0xbf788fa5, v193
	v_fmamk_f32 v214, v195, 0x3e750f2a, v194
	v_fma_f32 v123, 0xbf788fa5, v192, -v193
	v_fmac_f32_e32 v194, 0xbe750f2a, v195
	v_sub_f32_e32 v116, v116, v122
	v_fmamk_f32 v122, v215, 0x3f116cb1, v216
	v_mul_f32_e32 v192, 0x3f116cb1, v117
	v_add_f32_e32 v202, v125, v202
	v_add_f32_e32 v196, v124, v196
	v_add_f32_e32 v197, v125, v197
	v_add_f32_e32 v198, v124, v198
	v_add_f32_e32 v199, v125, v199
	v_add_f32_e32 v171, v124, v171
	v_add_f32_e32 v206, v125, v206
	v_add_f32_e32 v200, v124, v200
	v_add_f32_e32 v172, v125, v172
	v_add_f32_e32 v210, v124, v210
	v_add_f32_e32 v211, v125, v211
	v_add_f32_e32 v208, v124, v208
	v_add_f32_e32 v209, v125, v209
	v_add_f32_e32 v212, v124, v212
	v_add_f32_e32 v193, v125, v214
	v_add_f32_e32 v123, v124, v123
	v_add_f32_e32 v124, v125, v194
	v_add_f32_e32 v122, v122, v201
	v_fmamk_f32 v125, v116, 0x3f52af12, v192
	v_mul_f32_e32 v194, 0xbf6f5d39, v213
	v_fma_f32 v195, 0x3f116cb1, v215, -v216
	v_fmac_f32_e32 v192, 0xbf52af12, v116
	v_mul_f32_e32 v201, 0xbeb58ec6, v117
	v_add_f32_e32 v125, v125, v202
	v_fmamk_f32 v202, v215, 0xbeb58ec6, v194
	v_add_f32_e32 v195, v195, v207
	v_add_f32_e32 v190, v192, v190
	v_fmamk_f32 v192, v116, 0x3f6f5d39, v201
	v_mul_f32_e32 v207, 0xbe750f2a, v213
	v_add_f32_e32 v191, v202, v191
	v_fma_f32 v194, 0xbeb58ec6, v215, -v194
	v_fmac_f32_e32 v201, 0xbf6f5d39, v116
	v_add_f32_e32 v192, v192, v203
	v_fmamk_f32 v202, v215, 0xbf788fa5, v207
	v_mul_f32_e32 v203, 0xbf788fa5, v117
	v_add_f32_e32 v194, v194, v196
	v_add_f32_e32 v196, v201, v197
	v_mul_f32_e32 v197, 0x3f29c268, v213
	v_add_f32_e32 v201, v202, v204
	v_fmamk_f32 v202, v116, 0x3e750f2a, v203
	v_fma_f32 v204, 0xbf788fa5, v215, -v207
	v_fmac_f32_e32 v203, 0xbe750f2a, v116
	v_mul_f32_e32 v214, 0xbf3f9e67, v117
	v_fmamk_f32 v207, v215, 0xbf3f9e67, v197
	v_add_f32_e32 v202, v202, v205
	v_add_f32_e32 v198, v204, v198
	;; [unrolled: 1-line block ×3, first 2 shown]
	v_fmamk_f32 v203, v116, 0xbf29c268, v214
	v_mul_f32_e32 v204, 0x3f7e222b, v213
	v_add_f32_e32 v171, v207, v171
	v_fma_f32 v197, 0xbf3f9e67, v215, -v197
	v_mul_f32_e32 v205, 0x3df6dbef, v117
	v_add_f32_e32 v203, v203, v206
	v_fmamk_f32 v206, v215, 0x3df6dbef, v204
	v_mul_f32_e32 v207, 0x3eedf032, v213
	v_fma_f32 v204, 0x3df6dbef, v215, -v204
	v_add_f32_e32 v197, v197, v200
	v_fmamk_f32 v200, v116, 0xbf7e222b, v205
	v_add_f32_e32 v206, v206, v210
	v_fmac_f32_e32 v205, 0x3f7e222b, v116
	v_fmamk_f32 v210, v215, 0x3f62ad3f, v207
	v_add_f32_e32 v204, v204, v208
	v_sub_f32_e32 v208, v119, v121
	v_add_f32_e32 v200, v200, v211
	v_mul_f32_e32 v117, 0x3f62ad3f, v117
	v_add_f32_e32 v205, v205, v209
	v_add_f32_e32 v209, v210, v212
	;; [unrolled: 1-line block ×3, first 2 shown]
	v_mul_f32_e32 v212, 0xbf7e222b, v208
	v_add_f32_e32 v119, v121, v119
	v_fmac_f32_e32 v214, 0x3f29c268, v116
	v_fmamk_f32 v210, v116, 0xbeedf032, v117
	v_fma_f32 v121, 0x3f62ad3f, v215, -v207
	v_fmac_f32_e32 v117, 0x3eedf032, v116
	v_sub_f32_e32 v116, v118, v120
	v_fmamk_f32 v118, v211, 0x3df6dbef, v212
	v_mul_f32_e32 v120, 0x3df6dbef, v119
	v_add_f32_e32 v121, v121, v123
	v_add_f32_e32 v117, v117, v124
	v_mul_f32_e32 v123, 0xbe750f2a, v208
	v_add_f32_e32 v118, v118, v122
	v_fmamk_f32 v122, v116, 0x3f7e222b, v120
	v_fma_f32 v124, 0x3df6dbef, v211, -v212
	v_fmac_f32_e32 v120, 0xbf7e222b, v116
	v_mul_f32_e32 v207, 0xbf788fa5, v119
	v_add_f32_e32 v193, v210, v193
	v_add_f32_e32 v122, v122, v125
	v_fmamk_f32 v125, v211, 0xbf788fa5, v123
	v_add_f32_e32 v124, v124, v195
	v_add_f32_e32 v120, v120, v190
	v_fmamk_f32 v190, v116, 0x3e750f2a, v207
	v_mul_f32_e32 v195, 0x3f6f5d39, v208
	v_add_f32_e32 v125, v125, v191
	v_mul_f32_e32 v210, 0x3f62ad3f, v119
	v_fma_f32 v123, 0xbf788fa5, v211, -v123
	v_add_f32_e32 v190, v190, v192
	v_fmamk_f32 v191, v211, 0xbeb58ec6, v195
	v_mul_f32_e32 v192, 0xbeb58ec6, v119
	v_fma_f32 v195, 0xbeb58ec6, v211, -v195
	v_fmac_f32_e32 v207, 0xbe750f2a, v116
	v_add_f32_e32 v123, v123, v194
	v_add_f32_e32 v191, v191, v201
	v_fmamk_f32 v201, v116, 0xbf6f5d39, v192
	v_fmac_f32_e32 v192, 0x3f6f5d39, v116
	v_add_f32_e32 v195, v195, v198
	v_fmamk_f32 v198, v116, 0xbeedf032, v210
	v_add_f32_e32 v194, v207, v196
	v_mul_f32_e32 v196, 0x3eedf032, v208
	v_add_f32_e32 v192, v192, v199
	v_mul_f32_e32 v199, 0xbf52af12, v208
	v_add_f32_e32 v198, v198, v203
	v_add_f32_e32 v201, v201, v202
	v_fmamk_f32 v207, v211, 0x3f62ad3f, v196
	v_fma_f32 v196, 0x3f62ad3f, v211, -v196
	v_fmamk_f32 v203, v211, 0x3f116cb1, v199
	v_fma_f32 v199, 0x3f116cb1, v211, -v199
	v_mul_f32_e32 v202, 0x3f116cb1, v119
	v_add_f32_e32 v171, v207, v171
	v_add_f32_e32 v196, v196, v197
	v_mul_f32_e32 v207, 0xbf29c268, v208
	v_add_f32_e32 v199, v199, v204
	v_sub_f32_e32 v204, v109, v115
	v_fmamk_f32 v197, v116, 0x3f52af12, v202
	v_add_f32_e32 v203, v203, v206
	v_fmac_f32_e32 v202, 0xbf52af12, v116
	v_mul_f32_e32 v119, 0xbf3f9e67, v119
	v_add_f32_e32 v206, v114, v108
	v_mul_f32_e32 v208, 0xbf6f5d39, v204
	v_add_f32_e32 v109, v115, v109
	v_fmac_f32_e32 v210, 0x3eedf032, v116
	v_add_f32_e32 v202, v202, v205
	v_fmamk_f32 v205, v116, 0x3f29c268, v119
	v_fma_f32 v115, 0xbf3f9e67, v211, -v207
	v_fmac_f32_e32 v119, 0xbf29c268, v116
	v_sub_f32_e32 v108, v108, v114
	v_fmamk_f32 v114, v206, 0xbeb58ec6, v208
	v_mul_f32_e32 v116, 0xbeb58ec6, v109
	v_add_f32_e32 v193, v205, v193
	v_add_f32_e32 v115, v115, v121
	;; [unrolled: 1-line block ×4, first 2 shown]
	v_fmamk_f32 v118, v108, 0x3f6f5d39, v116
	v_mul_f32_e32 v119, 0x3f29c268, v204
	v_fma_f32 v121, 0xbeb58ec6, v206, -v208
	v_fmac_f32_e32 v116, 0xbf6f5d39, v108
	v_mul_f32_e32 v205, 0xbf3f9e67, v109
	v_add_f32_e32 v118, v118, v122
	v_fmamk_f32 v122, v206, 0xbf3f9e67, v119
	v_add_f32_e32 v121, v121, v124
	v_add_f32_e32 v116, v116, v120
	v_fmamk_f32 v120, v108, 0xbf29c268, v205
	v_mul_f32_e32 v124, 0x3eedf032, v204
	v_add_f32_e32 v122, v122, v125
	v_add_f32_e32 v197, v197, v200
	v_fmamk_f32 v200, v211, 0xbf3f9e67, v207
	v_add_f32_e32 v120, v120, v190
	v_fmamk_f32 v125, v206, 0x3f62ad3f, v124
	v_mul_f32_e32 v190, 0x3f62ad3f, v109
	v_fma_f32 v119, 0xbf3f9e67, v206, -v119
	v_fmac_f32_e32 v205, 0x3f29c268, v108
	v_fma_f32 v124, 0x3f62ad3f, v206, -v124
	v_add_f32_e32 v125, v125, v191
	v_fmamk_f32 v191, v108, 0xbeedf032, v190
	v_fmac_f32_e32 v190, 0x3eedf032, v108
	v_mul_f32_e32 v207, 0x3df6dbef, v109
	v_add_f32_e32 v119, v119, v123
	v_add_f32_e32 v123, v205, v194
	v_mul_f32_e32 v194, 0xbf7e222b, v204
	v_add_f32_e32 v124, v124, v195
	v_add_f32_e32 v190, v190, v192
	v_fmamk_f32 v192, v108, 0x3f7e222b, v207
	v_mul_f32_e32 v195, 0x3e750f2a, v204
	v_fmamk_f32 v205, v206, 0x3df6dbef, v194
	v_add_f32_e32 v191, v191, v201
	v_fma_f32 v194, 0x3df6dbef, v206, -v194
	v_mul_f32_e32 v201, 0xbf788fa5, v109
	v_add_f32_e32 v192, v192, v198
	v_fmamk_f32 v198, v206, 0xbf788fa5, v195
	v_fma_f32 v195, 0xbf788fa5, v206, -v195
	v_add_f32_e32 v194, v194, v196
	v_fmamk_f32 v196, v108, 0xbe750f2a, v201
	v_mul_f32_e32 v204, 0x3f52af12, v204
	v_fmac_f32_e32 v201, 0x3e750f2a, v108
	v_add_f32_e32 v195, v195, v199
	v_sub_f32_e32 v199, v111, v113
	v_add_f32_e32 v200, v200, v209
	v_add_f32_e32 v198, v198, v203
	;; [unrolled: 1-line block ×3, first 2 shown]
	v_fmamk_f32 v197, v206, 0x3f116cb1, v204
	v_mul_f32_e32 v109, 0x3f116cb1, v109
	v_add_f32_e32 v201, v201, v202
	v_add_f32_e32 v202, v112, v110
	v_mul_f32_e32 v203, 0xbf29c268, v199
	v_add_f32_e32 v111, v113, v111
	v_fmac_f32_e32 v207, 0xbf7e222b, v108
	v_add_f32_e32 v197, v197, v200
	v_fmamk_f32 v200, v108, 0xbf52af12, v109
	v_fma_f32 v113, 0x3f116cb1, v206, -v204
	v_fmac_f32_e32 v109, 0x3f52af12, v108
	v_sub_f32_e32 v108, v110, v112
	v_fmamk_f32 v110, v202, 0xbf3f9e67, v203
	v_mul_f32_e32 v112, 0xbf3f9e67, v111
	v_add_f32_e32 v193, v200, v193
	v_add_f32_e32 v113, v113, v115
	;; [unrolled: 1-line block ×4, first 2 shown]
	v_fmamk_f32 v114, v108, 0x3f29c268, v112
	v_mul_f32_e32 v115, 0x3f7e222b, v199
	v_fma_f32 v117, 0xbf3f9e67, v202, -v203
	v_fmac_f32_e32 v112, 0xbf29c268, v108
	v_mul_f32_e32 v200, 0x3df6dbef, v111
	v_add_f32_e32 v114, v114, v118
	v_fmamk_f32 v118, v202, 0x3df6dbef, v115
	v_add_f32_e32 v117, v117, v121
	v_add_f32_e32 v112, v112, v116
	v_fmamk_f32 v116, v108, 0xbf7e222b, v200
	v_mul_f32_e32 v121, 0xbf52af12, v199
	v_fma_f32 v115, 0x3df6dbef, v202, -v115
	v_fmac_f32_e32 v200, 0x3f7e222b, v108
	v_add_f32_e32 v118, v118, v122
	v_add_f32_e32 v116, v116, v120
	v_fmamk_f32 v120, v202, 0x3f116cb1, v121
	v_mul_f32_e32 v122, 0x3f116cb1, v111
	v_add_f32_e32 v115, v115, v119
	v_add_f32_e32 v119, v200, v123
	v_mul_f32_e32 v123, 0x3e750f2a, v199
	v_add_f32_e32 v171, v205, v171
	v_add_f32_e32 v120, v120, v125
	v_fmamk_f32 v125, v108, 0x3f52af12, v122
	v_fma_f32 v121, 0x3f116cb1, v202, -v121
	v_fmac_f32_e32 v122, 0xbf52af12, v108
	v_fmamk_f32 v200, v202, 0xbf788fa5, v123
	v_mul_f32_e32 v203, 0xbf788fa5, v111
	v_add_f32_e32 v125, v125, v191
	v_add_f32_e32 v121, v121, v124
	;; [unrolled: 1-line block ×4, first 2 shown]
	v_fmamk_f32 v171, v108, 0xbe750f2a, v203
	v_mul_f32_e32 v190, 0x3eedf032, v199
	v_fma_f32 v123, 0xbf788fa5, v202, -v123
	v_mul_f32_e32 v191, 0x3f62ad3f, v111
	v_mul_f32_e32 v199, 0xbf6f5d39, v199
	v_add_f32_e32 v171, v171, v192
	v_fmamk_f32 v192, v202, 0x3f62ad3f, v190
	v_add_f32_e32 v123, v123, v194
	v_fmamk_f32 v194, v108, 0xbeedf032, v191
	v_fma_f32 v190, 0x3f62ad3f, v202, -v190
	v_fmac_f32_e32 v191, 0x3eedf032, v108
	v_mul_f32_e32 v111, 0xbeb58ec6, v111
	v_add_f32_e32 v192, v192, v198
	v_add_f32_e32 v194, v194, v196
	v_fmamk_f32 v196, v202, 0xbeb58ec6, v199
	v_add_f32_e32 v190, v190, v195
	v_sub_f32_e32 v195, v105, v107
	v_add_f32_e32 v191, v191, v201
	v_add_f32_e32 v198, v106, v104
	;; [unrolled: 1-line block ×3, first 2 shown]
	v_fmamk_f32 v197, v108, 0x3f6f5d39, v111
	v_mul_f32_e32 v200, 0xbe750f2a, v195
	v_add_f32_e32 v201, v107, v105
	v_fmac_f32_e32 v111, 0xbf6f5d39, v108
	v_fma_f32 v105, 0xbeb58ec6, v202, -v199
	v_sub_f32_e32 v199, v104, v106
	v_fmamk_f32 v104, v198, 0xbf788fa5, v200
	v_mul_f32_e32 v107, 0xbf788fa5, v201
	v_add_f32_e32 v202, v111, v109
	v_mul_f32_e32 v111, 0x3f62ad3f, v201
	v_add_f32_e32 v172, v214, v172
	v_add_f32_e32 v193, v197, v193
	;; [unrolled: 1-line block ×4, first 2 shown]
	v_fmamk_f32 v105, v199, 0x3e750f2a, v107
	v_mul_f32_e32 v109, 0x3eedf032, v195
	v_fma_f32 v106, 0xbf788fa5, v198, -v200
	v_fmac_f32_e32 v107, 0xbe750f2a, v199
	v_fmamk_f32 v110, v199, 0xbeedf032, v111
	v_mul_f32_e32 v113, 0xbf29c268, v195
	v_add_f32_e32 v172, v210, v172
	v_fmac_f32_e32 v203, 0x3e750f2a, v108
	v_add_f32_e32 v105, v105, v114
	v_fmamk_f32 v108, v198, 0x3f62ad3f, v109
	v_add_f32_e32 v106, v106, v117
	v_add_f32_e32 v107, v107, v112
	v_fma_f32 v112, 0x3f62ad3f, v198, -v109
	v_fmac_f32_e32 v111, 0x3eedf032, v199
	v_add_f32_e32 v109, v110, v116
	v_fmamk_f32 v114, v198, 0xbf3f9e67, v113
	v_mul_f32_e32 v116, 0xbf3f9e67, v201
	v_mul_f32_e32 v117, 0x3f52af12, v195
	v_add_f32_e32 v172, v207, v172
	v_add_f32_e32 v108, v108, v118
	v_add_f32_e32 v110, v112, v115
	v_add_f32_e32 v111, v111, v119
	v_add_f32_e32 v112, v114, v120
	v_fmamk_f32 v114, v199, 0x3f29c268, v116
	v_fma_f32 v115, 0xbf3f9e67, v198, -v113
	v_fmac_f32_e32 v116, 0xbf29c268, v199
	v_fmamk_f32 v118, v198, 0x3f116cb1, v117
	v_mul_f32_e32 v119, 0x3f116cb1, v201
	v_add_f32_e32 v172, v203, v172
	v_add_f32_e32 v113, v114, v125
	;; [unrolled: 1-line block ×5, first 2 shown]
	v_fmamk_f32 v118, v199, 0xbf52af12, v119
	v_mul_f32_e32 v120, 0xbf6f5d39, v195
	v_fma_f32 v121, 0x3f116cb1, v198, -v117
	v_fmac_f32_e32 v119, 0x3f52af12, v199
	v_mul_f32_e32 v124, 0xbeb58ec6, v201
	v_add_f32_e32 v117, v118, v171
	v_fmamk_f32 v122, v198, 0xbeb58ec6, v120
	v_add_f32_e32 v118, v121, v123
	v_add_f32_e32 v119, v119, v172
	v_fma_f32 v123, 0xbeb58ec6, v198, -v120
	v_mul_f32_e32 v125, 0x3f7e222b, v195
	v_mul_f32_e32 v172, 0x3df6dbef, v201
	v_fmamk_f32 v121, v199, 0x3f6f5d39, v124
	v_add_f32_e32 v120, v122, v192
	v_add_f32_e32 v122, v123, v190
	v_fmac_f32_e32 v124, 0xbf6f5d39, v199
	v_fmamk_f32 v171, v198, 0x3df6dbef, v125
	v_fmamk_f32 v190, v199, 0xbf7e222b, v172
	v_fma_f32 v192, 0x3df6dbef, v198, -v125
	v_fmac_f32_e32 v172, 0x3f7e222b, v199
	v_add_f32_e32 v121, v121, v194
	v_add_f32_e32 v123, v124, v191
	;; [unrolled: 1-line block ×6, first 2 shown]
	s_barrier
	buffer_gl0_inv
	ds_write2_b64 v189, v[126:127], v[104:105] offset1:1
	ds_write2_b64 v189, v[108:109], v[112:113] offset0:2 offset1:3
	ds_write2_b64 v189, v[116:117], v[120:121] offset0:4 offset1:5
	;; [unrolled: 1-line block ×5, first 2 shown]
	ds_write_b64 v189, v[106:107] offset:96
	s_and_saveexec_b32 s0, vcc_lo
	s_cbranch_execz .LBB0_13
; %bb.12:
	v_add_f32_e32 v112, v103, v101
	v_add_f32_e32 v113, v102, v100
	;; [unrolled: 1-line block ×4, first 2 shown]
	v_sub_f32_e32 v109, v102, v169
	v_add_f32_e32 v116, v25, v112
	v_add_f32_e32 v113, v24, v113
	;; [unrolled: 1-line block ×3, first 2 shown]
	v_sub_f32_e32 v104, v24, v22
	v_sub_f32_e32 v110, v52, v58
	v_add_f32_e32 v116, v27, v116
	v_add_f32_e32 v113, v26, v113
	v_add_f32_e32 v112, v57, v55
	v_sub_f32_e32 v117, v103, v170
	v_sub_f32_e32 v103, v54, v56
	v_add_f32_e32 v116, v53, v116
	v_add_f32_e32 v120, v52, v113
	v_sub_f32_e32 v113, v27, v21
	v_add_f32_e32 v118, v169, v102
	v_sub_f32_e32 v102, v25, v23
	v_add_f32_e32 v27, v55, v116
	v_add_f32_e32 v116, v54, v120
	;; [unrolled: 1-line block ×4, first 2 shown]
	v_sub_f32_e32 v52, v55, v57
	v_add_f32_e32 v27, v29, v27
	v_add_f32_e32 v116, v28, v116
	v_mul_f32_e32 v108, 0xbf788fa5, v114
	v_sub_f32_e32 v105, v26, v20
	v_mul_f32_e32 v119, 0xbe750f2a, v117
	v_add_f32_e32 v122, v31, v27
	v_add_f32_e32 v116, v30, v116
	;; [unrolled: 1-line block ×4, first 2 shown]
	v_mul_f32_e32 v55, 0xbf3f9e67, v114
	v_add_f32_e32 v57, v57, v122
	v_add_f32_e32 v56, v56, v116
	v_mul_f32_e32 v120, 0xbf29c268, v117
	v_mul_f32_e32 v116, 0xbeb58ec6, v114
	;; [unrolled: 1-line block ×3, first 2 shown]
	v_add_f32_e32 v57, v59, v57
	v_add_f32_e32 v56, v58, v56
	v_mul_f32_e32 v124, 0x3df6dbef, v114
	v_mul_f32_e32 v126, 0xbf52af12, v117
	v_add_f32_e32 v111, v59, v53
	v_add_f32_e32 v21, v21, v57
	;; [unrolled: 1-line block ×3, first 2 shown]
	v_mul_f32_e32 v56, 0xbf7e222b, v117
	v_mul_f32_e32 v57, 0x3f116cb1, v114
	;; [unrolled: 1-line block ×4, first 2 shown]
	v_fmamk_f32 v115, v109, 0x3e750f2a, v108
	v_fmamk_f32 v121, v118, 0xbf788fa5, v119
	v_sub_f32_e32 v53, v53, v59
	v_fmamk_f32 v54, v109, 0x3f29c268, v55
	v_fmamk_f32 v123, v118, 0xbf3f9e67, v120
	;; [unrolled: 1-line block ×5, first 2 shown]
	v_add_f32_e32 v21, v23, v21
	v_add_f32_e32 v20, v22, v20
	v_fmamk_f32 v22, v118, 0x3df6dbef, v56
	v_fmamk_f32 v23, v109, 0x3f52af12, v57
	;; [unrolled: 1-line block ×3, first 2 shown]
	v_fmac_f32_e32 v108, 0xbe750f2a, v109
	v_fmac_f32_e32 v55, 0xbf29c268, v109
	;; [unrolled: 1-line block ×6, first 2 shown]
	v_fmamk_f32 v109, v118, 0x3f116cb1, v126
	v_fma_f32 v119, 0xbf788fa5, v118, -v119
	v_fma_f32 v120, 0xbf3f9e67, v118, -v120
	;; [unrolled: 1-line block ×5, first 2 shown]
	v_fmamk_f32 v171, v118, 0x3f62ad3f, v117
	v_fma_f32 v117, 0x3f62ad3f, v118, -v117
	v_add_f32_e32 v118, v100, v121
	v_add_f32_e32 v121, v100, v123
	;; [unrolled: 1-line block ×13, first 2 shown]
	v_mul_f32_e32 v100, 0x3f62ad3f, v106
	v_mul_f32_e32 v193, 0x3eedf032, v102
	v_add_f32_e32 v115, v101, v115
	v_add_f32_e32 v172, v101, v23
	v_mul_f32_e32 v196, 0xbf3f9e67, v107
	v_fmamk_f32 v22, v104, 0xbeedf032, v100
	v_fmamk_f32 v23, v25, 0x3f62ad3f, v193
	v_mul_f32_e32 v197, 0xbf29c268, v113
	v_add_f32_e32 v54, v101, v54
	v_add_f32_e32 v58, v101, v58
	;; [unrolled: 1-line block ×10, first 2 shown]
	v_sub_f32_e32 v192, v28, v30
	v_sub_f32_e32 v194, v29, v31
	v_add_f32_e32 v195, v30, v28
	v_mul_f32_e32 v198, 0x3f116cb1, v111
	v_fmamk_f32 v28, v105, 0x3f29c268, v196
	v_add_f32_e32 v22, v22, v115
	v_add_f32_e32 v23, v23, v118
	v_fmamk_f32 v29, v26, 0xbf3f9e67, v197
	v_mul_f32_e32 v115, 0x3f52af12, v53
	v_add_f32_e32 v21, v170, v21
	v_fmamk_f32 v30, v110, 0xbf52af12, v198
	v_add_f32_e32 v22, v28, v22
	v_add_f32_e32 v23, v29, v23
	v_mul_f32_e32 v118, 0xbeb58ec6, v112
	v_fmamk_f32 v28, v24, 0x3f116cb1, v115
	v_mul_f32_e32 v170, 0xbf6f5d39, v52
	v_add_f32_e32 v20, v169, v20
	v_add_f32_e32 v22, v30, v22
	v_fmamk_f32 v29, v103, 0x3f6f5d39, v118
	v_add_f32_e32 v23, v28, v23
	v_fmamk_f32 v28, v27, 0xbeb58ec6, v170
	v_mul_f32_e32 v169, 0x3df6dbef, v101
	v_mul_f32_e32 v199, 0x3f7e222b, v194
	v_add_f32_e32 v22, v29, v22
	v_mul_f32_e32 v200, 0x3df6dbef, v106
	v_add_f32_e32 v28, v28, v23
	v_fmamk_f32 v23, v192, 0xbf7e222b, v169
	v_fmamk_f32 v29, v195, 0x3df6dbef, v199
	v_mul_f32_e32 v201, 0x3f116cb1, v107
	v_mul_f32_e32 v202, 0xbf788fa5, v111
	;; [unrolled: 1-line block ×3, first 2 shown]
	v_add_f32_e32 v23, v23, v22
	v_add_f32_e32 v22, v29, v28
	v_fmamk_f32 v28, v104, 0xbf7e222b, v200
	v_fmamk_f32 v29, v105, 0x3f52af12, v201
	v_mul_f32_e32 v204, 0xbf52af12, v113
	v_mul_f32_e32 v205, 0x3e750f2a, v53
	;; [unrolled: 1-line block ×3, first 2 shown]
	v_add_f32_e32 v28, v28, v54
	v_mul_f32_e32 v207, 0xbeb58ec6, v101
	v_mul_f32_e32 v208, 0xbf6f5d39, v194
	;; [unrolled: 1-line block ×4, first 2 shown]
	v_add_f32_e32 v28, v29, v28
	v_fmamk_f32 v29, v110, 0xbe750f2a, v202
	v_mul_f32_e32 v211, 0x3df6dbef, v111
	v_mul_f32_e32 v212, 0x3f29c268, v102
	v_fmamk_f32 v31, v105, 0xbeedf032, v210
	v_mul_f32_e32 v213, 0xbf788fa5, v112
	v_add_f32_e32 v28, v29, v28
	v_fmamk_f32 v29, v25, 0x3df6dbef, v203
	v_mul_f32_e32 v214, 0x3eedf032, v113
	v_mul_f32_e32 v215, 0xbf7e222b, v53
	v_fmamk_f32 v54, v103, 0xbe750f2a, v213
	v_mul_f32_e32 v216, 0x3e750f2a, v52
	v_add_f32_e32 v29, v29, v121
	v_mul_f32_e32 v121, 0x3f62ad3f, v112
	v_mul_f32_e32 v217, 0x3f116cb1, v101
	;; [unrolled: 1-line block ×5, first 2 shown]
	v_fmamk_f32 v30, v103, 0xbeedf032, v121
	v_mul_f32_e32 v221, 0xbe750f2a, v102
	v_mul_f32_e32 v222, 0x3f6f5d39, v113
	v_mul_f32_e32 v223, 0x3eedf032, v53
	v_mul_f32_e32 v224, 0xbf52af12, v52
	v_add_f32_e32 v28, v30, v28
	v_fmamk_f32 v30, v26, 0x3f116cb1, v204
	v_mul_f32_e32 v225, 0xbf3f9e67, v101
	v_mul_f32_e32 v226, 0xbf29c268, v194
	v_mul_f32_e32 v227, 0xbeb58ec6, v106
	v_mul_f32_e32 v228, 0xbf3f9e67, v111
	v_add_f32_e32 v29, v30, v29
	;; [unrolled: 6-line block ×5, first 2 shown]
	v_fmamk_f32 v28, v195, 0xbeb58ec6, v208
	v_mul_f32_e32 v238, 0xbf788fa5, v101
	v_mul_f32_e32 v194, 0xbe750f2a, v194
	v_fmamk_f32 v52, v27, 0xbf3f9e67, v237
	v_fmac_f32_e32 v100, 0x3eedf032, v104
	v_add_f32_e32 v28, v28, v30
	v_fmamk_f32 v30, v104, 0xbf29c268, v209
	v_fmac_f32_e32 v196, 0xbf29c268, v105
	v_fmac_f32_e32 v198, 0x3f52af12, v110
	;; [unrolled: 1-line block ×4, first 2 shown]
	v_add_f32_e32 v30, v30, v58
	v_fmamk_f32 v58, v103, 0xbf7e222b, v230
	v_fma_f32 v101, 0x3df6dbef, v195, -v199
	v_fmac_f32_e32 v200, 0x3f7e222b, v104
	v_fmac_f32_e32 v201, 0xbf52af12, v105
	v_add_f32_e32 v30, v31, v30
	v_fmamk_f32 v31, v110, 0x3f7e222b, v211
	v_fmac_f32_e32 v202, 0x3e750f2a, v110
	v_fmac_f32_e32 v121, 0x3eedf032, v103
	;; [unrolled: 1-line block ×4, first 2 shown]
	v_add_f32_e32 v30, v31, v30
	v_fmamk_f32 v31, v25, 0xbf3f9e67, v212
	v_fmac_f32_e32 v210, 0x3eedf032, v105
	v_fmac_f32_e32 v211, 0xbf7e222b, v110
	;; [unrolled: 1-line block ×3, first 2 shown]
	v_add_f32_e32 v30, v54, v30
	v_add_f32_e32 v31, v31, v59
	v_fmamk_f32 v54, v26, 0x3f62ad3f, v214
	v_fmac_f32_e32 v230, 0x3f7e222b, v103
	v_add_f32_e32 v31, v54, v31
	v_fmamk_f32 v54, v24, 0x3df6dbef, v215
	v_add_f32_e32 v31, v54, v31
	v_fmamk_f32 v54, v27, 0xbf788fa5, v216
	;; [unrolled: 2-line block ×3, first 2 shown]
	v_fmac_f32_e32 v217, 0x3f52af12, v192
	v_add_f32_e32 v31, v31, v30
	v_fmamk_f32 v30, v195, 0x3f116cb1, v218
	v_add_f32_e32 v30, v30, v54
	v_fmamk_f32 v54, v104, 0x3e750f2a, v219
	v_fmac_f32_e32 v219, 0xbe750f2a, v104
	v_add_f32_e32 v54, v54, v123
	v_mul_f32_e32 v123, 0xbeb58ec6, v107
	v_fmamk_f32 v55, v105, 0xbf6f5d39, v123
	v_fmac_f32_e32 v123, 0x3f6f5d39, v105
	v_add_f32_e32 v54, v55, v54
	v_fmamk_f32 v55, v110, 0xbeedf032, v220
	v_fmac_f32_e32 v220, 0x3eedf032, v110
	v_add_f32_e32 v54, v55, v54
	v_fmamk_f32 v55, v25, 0xbf788fa5, v221
	v_add_f32_e32 v55, v55, v125
	v_mul_f32_e32 v125, 0x3f116cb1, v112
	v_mul_f32_e32 v112, 0xbf3f9e67, v112
	v_fmamk_f32 v56, v103, 0x3f52af12, v125
	v_fmamk_f32 v106, v103, 0x3f29c268, v112
	v_fmac_f32_e32 v125, 0xbf52af12, v103
	v_fmac_f32_e32 v112, 0xbf29c268, v103
	v_add_f32_e32 v54, v56, v54
	v_fmamk_f32 v56, v26, 0xbeb58ec6, v222
	v_add_f32_e32 v55, v56, v55
	v_fmamk_f32 v56, v24, 0x3f62ad3f, v223
	;; [unrolled: 2-line block ×4, first 2 shown]
	v_fmac_f32_e32 v225, 0xbf29c268, v192
	v_add_f32_e32 v55, v55, v54
	v_fmamk_f32 v54, v195, 0xbf3f9e67, v226
	v_add_f32_e32 v54, v54, v56
	v_fmamk_f32 v56, v104, 0x3f6f5d39, v227
	v_fmac_f32_e32 v227, 0xbf6f5d39, v104
	v_add_f32_e32 v56, v56, v172
	v_mul_f32_e32 v172, 0xbf788fa5, v107
	v_fmamk_f32 v57, v105, 0x3e750f2a, v172
	v_fmac_f32_e32 v172, 0xbe750f2a, v105
	v_add_f32_e32 v56, v57, v56
	v_fmamk_f32 v57, v110, 0xbf29c268, v228
	v_fmac_f32_e32 v228, 0x3f29c268, v110
	v_add_f32_e32 v56, v57, v56
	v_fmamk_f32 v57, v25, 0xbeb58ec6, v229
	v_add_f32_e32 v56, v58, v56
	v_add_f32_e32 v57, v57, v109
	v_fmamk_f32 v58, v26, 0xbf788fa5, v231
	v_fma_f32 v109, 0xbf788fa5, v25, -v221
	v_add_f32_e32 v57, v58, v57
	v_fmamk_f32 v58, v24, 0xbf3f9e67, v232
	v_add_f32_e32 v109, v109, v190
	v_add_f32_e32 v57, v58, v57
	v_fmamk_f32 v58, v27, 0x3df6dbef, v233
	v_add_f32_e32 v58, v58, v57
	v_fmamk_f32 v57, v192, 0xbeedf032, v234
	v_fmac_f32_e32 v234, 0x3eedf032, v192
	v_add_f32_e32 v57, v57, v56
	v_fmamk_f32 v56, v195, 0x3f62ad3f, v235
	v_add_f32_e32 v56, v56, v58
	v_fmamk_f32 v58, v104, 0x3f52af12, v236
	v_fmac_f32_e32 v236, 0xbf52af12, v104
	v_fma_f32 v104, 0xbf788fa5, v26, -v231
	v_add_f32_e32 v58, v58, v127
	v_mul_f32_e32 v127, 0x3df6dbef, v107
	v_fma_f32 v107, 0xbeb58ec6, v195, -v208
	v_add_f32_e32 v114, v236, v114
	v_fmamk_f32 v59, v105, 0x3f7e222b, v127
	v_fmac_f32_e32 v127, 0xbf7e222b, v105
	v_add_f32_e32 v58, v59, v58
	v_fmamk_f32 v59, v110, 0x3f6f5d39, v111
	v_add_f32_e32 v105, v127, v114
	v_fmac_f32_e32 v111, 0xbf6f5d39, v110
	v_add_f32_e32 v58, v59, v58
	v_fmamk_f32 v59, v25, 0x3f116cb1, v102
	v_add_f32_e32 v58, v106, v58
	v_add_f32_e32 v59, v59, v171
	v_fmamk_f32 v106, v26, 0x3df6dbef, v113
	v_mul_f32_e32 v171, 0xbf6f5d39, v53
	v_add_f32_e32 v59, v106, v59
	v_fmamk_f32 v53, v24, 0xbeb58ec6, v171
	v_fma_f32 v106, 0x3f116cb1, v26, -v204
	v_add_f32_e32 v53, v53, v59
	v_fma_f32 v59, 0x3f62ad3f, v25, -v193
	v_add_f32_e32 v52, v52, v53
	v_fmamk_f32 v53, v192, 0x3e750f2a, v238
	v_add_f32_e32 v59, v59, v119
	v_fma_f32 v119, 0x3f116cb1, v195, -v218
	v_fmac_f32_e32 v238, 0xbe750f2a, v192
	v_add_f32_e32 v53, v53, v58
	v_fmamk_f32 v58, v195, 0xbf788fa5, v194
	v_add_f32_e32 v52, v58, v52
	v_add_f32_e32 v58, v100, v108
	v_fma_f32 v100, 0xbf3f9e67, v26, -v197
	v_fma_f32 v108, 0x3f62ad3f, v26, -v214
	v_add_f32_e32 v58, v196, v58
	v_add_f32_e32 v59, v100, v59
	v_fma_f32 v100, 0x3f116cb1, v24, -v115
	v_fma_f32 v115, 0xbeb58ec6, v26, -v222
	;; [unrolled: 1-line block ×3, first 2 shown]
	v_add_f32_e32 v58, v198, v58
	v_add_f32_e32 v59, v100, v59
	v_fma_f32 v100, 0xbeb58ec6, v27, -v170
	v_add_f32_e32 v109, v115, v109
	v_add_f32_e32 v58, v118, v58
	v_fma_f32 v115, 0x3f62ad3f, v24, -v223
	v_fma_f32 v118, 0x3f116cb1, v27, -v224
	v_add_f32_e32 v100, v100, v59
	v_add_f32_e32 v59, v169, v58
	;; [unrolled: 1-line block ×4, first 2 shown]
	v_fma_f32 v101, 0x3df6dbef, v25, -v203
	v_add_f32_e32 v100, v200, v189
	v_add_f32_e32 v118, v118, v109
	;; [unrolled: 1-line block ×4, first 2 shown]
	v_fma_f32 v120, 0xbf3f9e67, v195, -v226
	v_add_f32_e32 v101, v106, v101
	v_fma_f32 v106, 0xbf788fa5, v24, -v205
	v_add_f32_e32 v100, v202, v100
	v_add_f32_e32 v101, v106, v101
	v_fma_f32 v106, 0x3f62ad3f, v27, -v206
	v_add_f32_e32 v100, v121, v100
	v_add_f32_e32 v106, v106, v101
	v_add_f32_e32 v101, v207, v100
	v_add_f32_e32 v100, v107, v106
	v_fma_f32 v107, 0xbf3f9e67, v25, -v212
	v_add_f32_e32 v106, v209, v116
	v_add_f32_e32 v107, v107, v122
	;; [unrolled: 5-line block ×3, first 2 shown]
	v_fma_f32 v108, 0xbf788fa5, v27, -v216
	v_add_f32_e32 v106, v213, v106
	v_add_f32_e32 v108, v108, v107
	;; [unrolled: 1-line block ×8, first 2 shown]
	v_fma_f32 v115, 0xbeb58ec6, v25, -v229
	v_fma_f32 v25, 0x3f116cb1, v25, -v102
	v_add_f32_e32 v116, v172, v107
	v_add_f32_e32 v107, v217, v106
	;; [unrolled: 1-line block ×8, first 2 shown]
	v_fma_f32 v104, 0xbf3f9e67, v24, -v232
	v_add_f32_e32 v25, v26, v25
	v_fma_f32 v24, 0xbeb58ec6, v24, -v171
	v_add_f32_e32 v116, v230, v116
	v_add_f32_e32 v26, v104, v102
	v_fma_f32 v102, 0x3df6dbef, v27, -v233
	v_add_f32_e32 v104, v111, v105
	v_add_f32_e32 v24, v24, v25
	v_fma_f32 v25, 0xbf3f9e67, v27, -v237
	v_fma_f32 v27, 0x3f62ad3f, v195, -v235
	v_add_f32_e32 v26, v102, v26
	v_add_f32_e32 v102, v112, v104
	v_fma_f32 v104, 0xbf788fa5, v195, -v194
	v_add_f32_e32 v103, v25, v24
	v_lshlrev_b32_e32 v105, 3, v175
	v_add_f32_e32 v25, v234, v116
	v_add_f32_e32 v24, v27, v26
	;; [unrolled: 1-line block ×4, first 2 shown]
	ds_write2_b64 v105, v[20:21], v[52:53] offset1:1
	ds_write2_b64 v105, v[56:57], v[54:55] offset0:2 offset1:3
	ds_write2_b64 v105, v[30:31], v[28:29] offset0:4 offset1:5
	ds_write2_b64 v105, v[22:23], v[58:59] offset0:6 offset1:7
	ds_write2_b64 v105, v[100:101], v[106:107] offset0:8 offset1:9
	ds_write2_b64 v105, v[108:109], v[24:25] offset0:10 offset1:11
	ds_write_b64 v105, v[26:27] offset:96
.LBB0_13:
	s_or_b32 exec_lo, exec_lo, s0
	v_add_nc_u32_e32 v23, 0xc00, v173
	v_add_nc_u32_e32 v20, 0x2400, v173
	;; [unrolled: 1-line block ×3, first 2 shown]
	s_waitcnt lgkmcnt(0)
	s_barrier
	buffer_gl0_inv
	ds_read2_b64 v[26:29], v23 offset0:84 offset1:201
	ds_read2_b64 v[52:55], v20 offset0:18 offset1:135
	;; [unrolled: 1-line block ×3, first 2 shown]
	v_add_nc_u32_e32 v25, 0x400, v173
	v_add_nc_u32_e32 v24, 0x2800, v173
	;; [unrolled: 1-line block ×3, first 2 shown]
	ds_read2_b64 v[100:103], v173 offset1:117
	ds_read_b64 v[30:31], v173 offset:13104
	ds_read2_b64 v[104:107], v25 offset0:106 offset1:223
	ds_read2_b64 v[108:111], v24 offset0:124 offset1:241
	;; [unrolled: 1-line block ×3, first 2 shown]
	s_waitcnt lgkmcnt(0)
	s_barrier
	buffer_gl0_inv
	s_mov_b32 s4, 0x68012abd
	s_mov_b32 s5, 0x3f42abd5
	s_mul_i32 s1, s9, 0x87
	s_mul_hi_u32 s6, s8, 0x87
	v_mul_f32_e32 v116, v17, v29
	v_mul_f32_e32 v17, v17, v28
	;; [unrolled: 1-line block ×7, first 2 shown]
	v_fmac_f32_e32 v116, v16, v28
	v_fma_f32 v16, v16, v29, -v17
	v_fmac_f32_e32 v117, v18, v52
	v_fma_f32 v17, v18, v53, -v19
	v_fmac_f32_e32 v119, v14, v54
	v_fma_f32 v14, v14, v55, -v15
	v_mul_f32_e32 v53, v1, v115
	v_mul_f32_e32 v1, v1, v114
	;; [unrolled: 1-line block ×5, first 2 shown]
	v_fmac_f32_e32 v118, v12, v56
	v_mul_f32_e32 v19, v5, v113
	v_mul_f32_e32 v5, v5, v112
	;; [unrolled: 1-line block ×4, first 2 shown]
	v_fmac_f32_e32 v53, v0, v114
	v_fma_f32 v56, v0, v115, -v1
	v_add_f32_e32 v0, v116, v117
	v_add_f32_e32 v1, v100, v116
	v_fma_f32 v31, v2, v31, -v3
	v_add_f32_e32 v3, v16, v17
	v_fma_f32 v12, v12, v57, -v13
	v_fma_f32 v52, v4, v113, -v5
	v_fmac_f32_e32 v29, v6, v110
	v_fma_f32 v54, v6, v111, -v7
	v_fmac_f32_e32 v55, v2, v30
	v_fma_f32 v0, -0.5, v0, v100
	v_sub_f32_e32 v5, v16, v17
	v_add_f32_e32 v2, v1, v117
	v_add_f32_e32 v6, v101, v16
	v_fma_f32 v1, -0.5, v3, v101
	v_sub_f32_e32 v7, v116, v117
	v_mul_f32_e32 v13, v9, v59
	v_mul_f32_e32 v9, v9, v58
	;; [unrolled: 1-line block ×4, first 2 shown]
	v_fmac_f32_e32 v19, v4, v112
	v_fmamk_f32 v4, v5, 0xbf5db3d7, v0
	v_fmac_f32_e32 v0, 0x3f5db3d7, v5
	v_add_f32_e32 v3, v6, v17
	v_add_f32_e32 v6, v118, v119
	v_fmamk_f32 v5, v7, 0x3f5db3d7, v1
	v_fmac_f32_e32 v1, 0xbf5db3d7, v7
	v_add_f32_e32 v7, v12, v14
	v_fmac_f32_e32 v13, v8, v58
	v_fma_f32 v18, v8, v59, -v9
	v_fmac_f32_e32 v15, v10, v108
	v_fma_f32 v28, v10, v109, -v11
	v_add_f32_e32 v8, v102, v118
	v_fma_f32 v102, -0.5, v6, v102
	v_sub_f32_e32 v9, v12, v14
	v_add_f32_e32 v10, v103, v12
	v_fmac_f32_e32 v103, -0.5, v7
	v_sub_f32_e32 v11, v118, v119
	v_add_f32_e32 v6, v8, v119
	v_fmamk_f32 v8, v9, 0xbf5db3d7, v102
	v_fmac_f32_e32 v102, 0x3f5db3d7, v9
	v_add_f32_e32 v7, v10, v14
	v_add_f32_e32 v10, v13, v15
	v_fmamk_f32 v9, v11, 0x3f5db3d7, v103
	v_fmac_f32_e32 v103, 0xbf5db3d7, v11
	v_add_f32_e32 v11, v18, v28
	v_add_f32_e32 v12, v104, v13
	v_fma_f32 v10, -0.5, v10, v104
	v_sub_f32_e32 v16, v18, v28
	v_add_f32_e32 v17, v105, v18
	v_fma_f32 v11, -0.5, v11, v105
	v_sub_f32_e32 v18, v13, v15
	v_add_f32_e32 v12, v12, v15
	v_fmamk_f32 v14, v16, 0xbf5db3d7, v10
	v_fmac_f32_e32 v10, 0x3f5db3d7, v16
	v_add_f32_e32 v13, v17, v28
	v_add_f32_e32 v16, v19, v29
	v_fmamk_f32 v15, v18, 0x3f5db3d7, v11
	v_add_f32_e32 v17, v106, v19
	v_fmac_f32_e32 v11, 0xbf5db3d7, v18
	v_add_f32_e32 v18, v52, v54
	v_fma_f32 v106, -0.5, v16, v106
	v_sub_f32_e32 v28, v52, v54
	v_add_f32_e32 v16, v17, v29
	v_add_f32_e32 v17, v107, v52
	v_fmac_f32_e32 v107, -0.5, v18
	v_sub_f32_e32 v29, v19, v29
	v_fmamk_f32 v18, v28, 0xbf5db3d7, v106
	v_fmac_f32_e32 v106, 0x3f5db3d7, v28
	v_add_f32_e32 v28, v53, v55
	v_add_f32_e32 v17, v17, v54
	v_fmamk_f32 v19, v29, 0x3f5db3d7, v107
	v_fmac_f32_e32 v107, 0xbf5db3d7, v29
	v_add_f32_e32 v29, v56, v31
	v_add_f32_e32 v30, v26, v53
	v_fma_f32 v26, -0.5, v28, v26
	v_sub_f32_e32 v52, v56, v31
	v_add_f32_e32 v54, v27, v56
	v_fmac_f32_e32 v27, -0.5, v29
	v_sub_f32_e32 v53, v53, v55
	v_add_f32_e32 v28, v30, v55
	v_fmamk_f32 v30, v52, 0xbf5db3d7, v26
	v_fmac_f32_e32 v26, 0x3f5db3d7, v52
	v_add_f32_e32 v29, v54, v31
	v_fmamk_f32 v31, v53, 0x3f5db3d7, v27
	v_fmac_f32_e32 v27, 0xbf5db3d7, v53
	ds_write2_b64 v180, v[2:3], v[4:5] offset1:13
	ds_write_b64 v180, v[0:1] offset:208
	ds_write2_b64 v179, v[6:7], v[8:9] offset1:13
	ds_write_b64 v179, v[102:103] offset:208
	;; [unrolled: 2-line block ×5, first 2 shown]
	s_waitcnt lgkmcnt(0)
	s_barrier
	buffer_gl0_inv
	ds_read2_b64 v[0:3], v23 offset0:84 offset1:201
	ds_read2_b64 v[4:7], v20 offset0:18 offset1:135
	;; [unrolled: 1-line block ×3, first 2 shown]
	ds_read2_b64 v[12:15], v173 offset1:117
	ds_read2_b64 v[16:19], v25 offset0:106 offset1:223
	ds_read2_b64 v[26:29], v24 offset0:124 offset1:241
	;; [unrolled: 1-line block ×3, first 2 shown]
	ds_read_b64 v[30:31], v173 offset:13104
	s_waitcnt lgkmcnt(0)
	s_barrier
	buffer_gl0_inv
	v_mul_f32_e32 v56, v49, v3
	v_mul_f32_e32 v49, v49, v2
	v_mul_f32_e32 v57, v51, v5
	v_fmac_f32_e32 v56, v48, v2
	v_mul_f32_e32 v2, v51, v4
	v_fma_f32 v3, v48, v3, -v49
	v_mul_f32_e32 v48, v45, v9
	v_fmac_f32_e32 v57, v50, v4
	v_mul_f32_e32 v4, v45, v8
	v_fma_f32 v5, v50, v5, -v2
	v_mul_f32_e32 v45, v47, v7
	;; [unrolled: 4-line block ×3, first 2 shown]
	v_mul_f32_e32 v4, v41, v10
	v_fmac_f32_e32 v45, v46, v6
	v_fma_f32 v41, v46, v7, -v2
	v_mul_f32_e32 v46, v43, v27
	v_fmac_f32_e32 v44, v40, v10
	v_mul_f32_e32 v2, v43, v26
	v_fma_f32 v40, v40, v11, -v4
	v_mul_f32_e32 v43, v37, v53
	v_mul_f32_e32 v4, v37, v52
	;; [unrolled: 1-line block ×3, first 2 shown]
	v_fma_f32 v27, v42, v27, -v2
	v_mul_f32_e32 v2, v39, v28
	v_fmac_f32_e32 v43, v36, v52
	v_fma_f32 v36, v36, v53, -v4
	v_mul_f32_e32 v39, v33, v55
	v_mul_f32_e32 v4, v33, v54
	v_fma_f32 v29, v38, v29, -v2
	v_mul_f32_e32 v2, v35, v30
	v_mul_f32_e32 v33, v35, v31
	v_fmac_f32_e32 v39, v32, v54
	v_fma_f32 v32, v32, v55, -v4
	v_add_f32_e32 v4, v56, v57
	v_add_f32_e32 v6, v12, v56
	v_fma_f32 v35, v34, v31, -v2
	v_add_f32_e32 v7, v3, v5
	v_sub_f32_e32 v8, v3, v5
	v_fma_f32 v2, -0.5, v4, v12
	v_add_f32_e32 v4, v6, v57
	v_add_f32_e32 v10, v13, v3
	v_fma_f32 v3, -0.5, v7, v13
	v_sub_f32_e32 v11, v56, v57
	v_fmamk_f32 v6, v8, 0xbf5db3d7, v2
	v_fmac_f32_e32 v2, 0x3f5db3d7, v8
	v_add_f32_e32 v8, v48, v45
	v_fmac_f32_e32 v46, v42, v26
	v_add_f32_e32 v5, v10, v5
	v_fmamk_f32 v7, v11, 0x3f5db3d7, v3
	v_add_f32_e32 v10, v14, v48
	v_fmac_f32_e32 v3, 0xbf5db3d7, v11
	v_add_f32_e32 v11, v9, v41
	v_fma_f32 v14, -0.5, v8, v14
	v_sub_f32_e32 v12, v9, v41
	v_add_f32_e32 v8, v10, v45
	v_add_f32_e32 v9, v15, v9
	v_fmac_f32_e32 v15, -0.5, v11
	v_sub_f32_e32 v13, v48, v45
	v_fmamk_f32 v10, v12, 0xbf5db3d7, v14
	v_fmac_f32_e32 v14, 0x3f5db3d7, v12
	v_add_f32_e32 v12, v44, v46
	v_fmac_f32_e32 v37, v38, v28
	v_fmamk_f32 v11, v13, 0x3f5db3d7, v15
	v_add_f32_e32 v26, v16, v44
	v_fmac_f32_e32 v15, 0xbf5db3d7, v13
	v_add_f32_e32 v13, v40, v27
	v_fma_f32 v12, -0.5, v12, v16
	v_sub_f32_e32 v28, v40, v27
	v_fmac_f32_e32 v33, v34, v30
	v_add_f32_e32 v16, v26, v46
	v_add_f32_e32 v30, v17, v40
	v_fma_f32 v13, -0.5, v13, v17
	v_sub_f32_e32 v31, v44, v46
	v_fmamk_f32 v26, v28, 0xbf5db3d7, v12
	v_fmac_f32_e32 v12, 0x3f5db3d7, v28
	v_add_f32_e32 v28, v43, v37
	v_add_f32_e32 v17, v30, v27
	v_fmamk_f32 v27, v31, 0x3f5db3d7, v13
	v_add_f32_e32 v30, v18, v43
	v_fmac_f32_e32 v13, 0xbf5db3d7, v31
	v_add_f32_e32 v31, v36, v29
	v_fma_f32 v18, -0.5, v28, v18
	v_sub_f32_e32 v34, v36, v29
	v_add_f32_e32 v36, v19, v36
	v_add_f32_e32 v28, v30, v37
	v_fmac_f32_e32 v19, -0.5, v31
	v_sub_f32_e32 v37, v43, v37
	v_fmamk_f32 v30, v34, 0xbf5db3d7, v18
	v_fmac_f32_e32 v18, 0x3f5db3d7, v34
	v_add_f32_e32 v29, v36, v29
	v_add_f32_e32 v34, v39, v33
	;; [unrolled: 1-line block ×3, first 2 shown]
	v_fmamk_f32 v31, v37, 0x3f5db3d7, v19
	v_fmac_f32_e32 v19, 0xbf5db3d7, v37
	v_add_f32_e32 v37, v0, v39
	v_fma_f32 v0, -0.5, v34, v0
	v_sub_f32_e32 v38, v32, v35
	v_add_f32_e32 v40, v1, v32
	v_fmac_f32_e32 v1, -0.5, v36
	v_sub_f32_e32 v36, v39, v33
	v_add_f32_e32 v9, v9, v41
	v_add_f32_e32 v32, v37, v33
	v_fmamk_f32 v34, v38, 0xbf5db3d7, v0
	v_fmac_f32_e32 v0, 0x3f5db3d7, v38
	v_add_f32_e32 v33, v40, v35
	v_fmamk_f32 v35, v36, 0x3f5db3d7, v1
	v_fmac_f32_e32 v1, 0xbf5db3d7, v36
	ds_write2_b64 v185, v[4:5], v[6:7] offset1:39
	ds_write_b64 v185, v[2:3] offset:624
	ds_write2_b64 v184, v[8:9], v[10:11] offset1:39
	ds_write_b64 v184, v[14:15] offset:624
	;; [unrolled: 2-line block ×5, first 2 shown]
	s_waitcnt lgkmcnt(0)
	s_barrier
	buffer_gl0_inv
	ds_read2_b64 v[0:3], v23 offset0:84 offset1:201
	ds_read2_b64 v[4:7], v20 offset0:18 offset1:135
	;; [unrolled: 1-line block ×3, first 2 shown]
	ds_read2_b64 v[12:15], v173 offset1:117
	ds_read2_b64 v[16:19], v25 offset0:106 offset1:223
	ds_read2_b64 v[26:29], v24 offset0:124 offset1:241
	;; [unrolled: 1-line block ×3, first 2 shown]
	ds_read_b64 v[34:35], v173 offset:13104
	s_waitcnt lgkmcnt(0)
	s_barrier
	buffer_gl0_inv
	v_mul_f32_e32 v36, v73, v3
	v_mul_f32_e32 v38, v75, v5
	;; [unrolled: 1-line block ×5, first 2 shown]
	v_fmac_f32_e32 v36, v72, v2
	v_mul_f32_e32 v2, v75, v4
	v_fmac_f32_e32 v38, v74, v4
	v_mul_f32_e32 v4, v73, v8
	v_fma_f32 v3, v72, v3, -v37
	v_mul_f32_e32 v37, v73, v9
	v_fma_f32 v5, v74, v5, -v2
	;; [unrolled: 2-line block ×3, first 2 shown]
	v_mul_f32_e32 v4, v69, v10
	v_mul_f32_e32 v44, v65, v31
	;; [unrolled: 1-line block ×3, first 2 shown]
	v_fma_f32 v41, v74, v7, -v2
	v_mul_f32_e32 v2, v71, v26
	v_fma_f32 v43, v68, v11, -v4
	v_mul_f32_e32 v4, v65, v30
	v_fmac_f32_e32 v44, v64, v30
	v_mul_f32_e32 v46, v61, v33
	v_fma_f32 v27, v70, v27, -v2
	v_mul_f32_e32 v2, v67, v28
	v_fma_f32 v30, v64, v31, -v4
	v_mul_f32_e32 v4, v61, v32
	v_mul_f32_e32 v45, v67, v29
	v_fmac_f32_e32 v46, v60, v32
	v_fma_f32 v29, v66, v29, -v2
	v_mul_f32_e32 v2, v63, v34
	v_fma_f32 v32, v60, v33, -v4
	v_add_f32_e32 v4, v36, v38
	v_add_f32_e32 v7, v3, v5
	v_fmac_f32_e32 v37, v72, v8
	v_fmac_f32_e32 v39, v74, v6
	;; [unrolled: 1-line block ×3, first 2 shown]
	v_add_f32_e32 v6, v12, v36
	v_fma_f32 v33, v62, v35, -v2
	v_fma_f32 v2, -0.5, v4, v12
	v_sub_f32_e32 v8, v3, v5
	v_add_f32_e32 v10, v13, v3
	v_fma_f32 v3, -0.5, v7, v13
	v_sub_f32_e32 v11, v36, v38
	v_add_f32_e32 v4, v6, v38
	v_fmamk_f32 v6, v8, 0xbf5db3d7, v2
	v_fmac_f32_e32 v2, 0x3f5db3d7, v8
	v_add_f32_e32 v8, v37, v39
	v_fmamk_f32 v7, v11, 0x3f5db3d7, v3
	v_fmac_f32_e32 v3, 0xbf5db3d7, v11
	v_add_f32_e32 v11, v9, v41
	v_fmac_f32_e32 v42, v70, v26
	v_add_f32_e32 v5, v10, v5
	v_add_f32_e32 v10, v14, v37
	v_fma_f32 v14, -0.5, v8, v14
	v_sub_f32_e32 v12, v9, v41
	v_add_f32_e32 v9, v15, v9
	v_fmac_f32_e32 v15, -0.5, v11
	v_sub_f32_e32 v13, v37, v39
	v_mul_f32_e32 v47, v63, v35
	v_add_f32_e32 v8, v10, v39
	v_fmamk_f32 v10, v12, 0xbf5db3d7, v14
	v_fmac_f32_e32 v14, 0x3f5db3d7, v12
	v_add_f32_e32 v12, v40, v42
	v_fmamk_f32 v11, v13, 0x3f5db3d7, v15
	v_fmac_f32_e32 v15, 0xbf5db3d7, v13
	v_add_f32_e32 v13, v43, v27
	v_fmac_f32_e32 v45, v66, v28
	v_fmac_f32_e32 v47, v62, v34
	v_add_f32_e32 v26, v16, v40
	v_fma_f32 v12, -0.5, v12, v16
	v_sub_f32_e32 v28, v43, v27
	v_add_f32_e32 v31, v17, v43
	v_fma_f32 v13, -0.5, v13, v17
	v_sub_f32_e32 v34, v40, v42
	v_add_f32_e32 v16, v26, v42
	v_fmamk_f32 v26, v28, 0xbf5db3d7, v12
	v_fmac_f32_e32 v12, 0x3f5db3d7, v28
	v_add_f32_e32 v17, v31, v27
	v_add_f32_e32 v28, v44, v45
	v_fmamk_f32 v27, v34, 0x3f5db3d7, v13
	v_add_f32_e32 v31, v18, v44
	v_fmac_f32_e32 v13, 0xbf5db3d7, v34
	v_add_f32_e32 v34, v30, v29
	v_fma_f32 v18, -0.5, v28, v18
	v_sub_f32_e32 v35, v30, v29
	v_add_f32_e32 v28, v31, v45
	v_add_f32_e32 v31, v19, v30
	v_fmac_f32_e32 v19, -0.5, v34
	v_sub_f32_e32 v34, v44, v45
	v_fmamk_f32 v30, v35, 0xbf5db3d7, v18
	v_fmac_f32_e32 v18, 0x3f5db3d7, v35
	v_add_f32_e32 v29, v31, v29
	v_add_f32_e32 v35, v46, v47
	v_fmamk_f32 v31, v34, 0x3f5db3d7, v19
	v_fmac_f32_e32 v19, 0xbf5db3d7, v34
	v_add_f32_e32 v34, v32, v33
	v_add_f32_e32 v9, v9, v41
	v_add_f32_e32 v36, v0, v46
	v_fma_f32 v0, -0.5, v35, v0
	v_sub_f32_e32 v35, v32, v33
	v_add_f32_e32 v37, v1, v32
	v_fmac_f32_e32 v1, -0.5, v34
	v_sub_f32_e32 v38, v46, v47
	ds_write2_b64 v173, v[4:5], v[6:7] offset1:117
	v_add_nc_u32_e32 v4, 0x1400, v186
	ds_write2_b64 v25, v[2:3], v[8:9] offset0:106 offset1:223
	v_add_nc_u32_e32 v2, 0x2000, v187
	v_add_f32_e32 v32, v36, v47
	v_fmamk_f32 v34, v35, 0xbf5db3d7, v0
	v_fmac_f32_e32 v0, 0x3f5db3d7, v35
	v_add_f32_e32 v33, v37, v33
	v_fmamk_f32 v35, v38, 0x3f5db3d7, v1
	v_fmac_f32_e32 v1, 0xbf5db3d7, v38
	v_add_nc_u32_e32 v3, 0x2800, v188
	ds_write2_b64 v23, v[10:11], v[14:15] offset0:84 offset1:201
	ds_write2_b64 v4, v[16:17], v[26:27] offset0:62 offset1:179
	ds_write_b64 v186, v[12:13] offset:7488
	ds_write2_b64 v2, v[28:29], v[30:31] offset0:29 offset1:146
	ds_write_b64 v187, v[18:19] offset:10296
	;; [unrolled: 2-line block ×3, first 2 shown]
	s_waitcnt lgkmcnt(0)
	s_barrier
	buffer_gl0_inv
	ds_read2_b64 v[0:3], v25 offset0:106 offset1:223
	ds_read2_b64 v[4:7], v22 offset0:62 offset1:179
	;; [unrolled: 1-line block ×5, first 2 shown]
	ds_read2_b64 v[26:29], v173 offset1:117
	ds_read2_b64 v[30:33], v20 offset0:18 offset1:135
	ds_read_b64 v[34:35], v173 offset:13104
	s_waitcnt lgkmcnt(7)
	v_mul_f32_e32 v37, v97, v2
	s_waitcnt lgkmcnt(6)
	v_mul_f32_e32 v39, v99, v4
	v_mul_f32_e32 v36, v97, v3
	;; [unrolled: 1-line block ×3, first 2 shown]
	s_waitcnt lgkmcnt(5)
	v_mul_f32_e32 v40, v93, v11
	v_fma_f32 v37, v96, v3, -v37
	v_fma_f32 v39, v98, v5, -v39
	s_waitcnt lgkmcnt(4)
	v_mul_f32_e32 v5, v95, v13
	v_mul_f32_e32 v3, v95, v12
	v_fmac_f32_e32 v36, v96, v2
	v_fmac_f32_e32 v38, v98, v4
	v_mul_f32_e32 v2, v93, v10
	s_waitcnt lgkmcnt(3)
	v_mul_f32_e32 v4, v89, v16
	v_fmac_f32_e32 v5, v94, v12
	v_fma_f32 v12, v94, v13, -v3
	s_waitcnt lgkmcnt(1)
	v_mul_f32_e32 v44, v81, v31
	v_mul_f32_e32 v3, v81, v30
	v_fma_f32 v42, v92, v11, -v2
	v_fma_f32 v43, v88, v17, -v4
	v_mul_f32_e32 v2, v91, v6
	v_fmac_f32_e32 v44, v80, v30
	v_fma_f32 v30, v80, v31, -v3
	v_mul_f32_e32 v3, v85, v18
	v_mul_f32_e32 v4, v87, v8
	v_fmac_f32_e32 v40, v92, v10
	v_mul_f32_e32 v41, v89, v17
	v_mul_f32_e32 v17, v91, v7
	v_fma_f32 v46, v90, v7, -v2
	v_mul_f32_e32 v2, v83, v14
	v_mul_f32_e32 v47, v87, v9
	v_fma_f32 v49, v84, v19, -v3
	v_fma_f32 v50, v86, v9, -v4
	v_mul_f32_e32 v3, v77, v32
	v_add_f32_e32 v4, v26, v36
	v_fmac_f32_e32 v17, v90, v6
	v_fma_f32 v48, v82, v15, -v2
	v_fmac_f32_e32 v47, v86, v8
	v_add_f32_e32 v2, v38, v40
	v_mul_f32_e32 v51, v77, v33
	v_fma_f32 v33, v76, v33, -v3
	v_add_f32_e32 v3, v4, v38
	v_sub_f32_e32 v6, v36, v38
	v_sub_f32_e32 v8, v5, v40
	v_add_f32_e32 v10, v36, v5
	v_mul_f32_e32 v45, v83, v15
	v_fma_f32 v2, -0.5, v2, v26
	v_sub_f32_e32 v7, v37, v12
	v_sub_f32_e32 v9, v39, v42
	s_waitcnt lgkmcnt(0)
	v_mul_f32_e32 v11, v79, v34
	v_add_f32_e32 v3, v3, v40
	v_add_f32_e32 v13, v6, v8
	v_fma_f32 v6, -0.5, v10, v26
	v_fmac_f32_e32 v45, v82, v14
	v_fmamk_f32 v4, v7, 0xbf737871, v2
	v_fma_f32 v53, v78, v35, -v11
	v_add_f32_e32 v8, v3, v5
	v_fmac_f32_e32 v2, 0x3f737871, v7
	v_fmamk_f32 v10, v9, 0x3f737871, v6
	v_sub_f32_e32 v3, v38, v36
	v_sub_f32_e32 v11, v40, v5
	v_add_f32_e32 v14, v27, v37
	v_add_f32_e32 v15, v39, v42
	v_fmac_f32_e32 v6, 0xbf737871, v9
	v_fmac_f32_e32 v41, v88, v16
	v_fmac_f32_e32 v4, 0xbf167918, v9
	v_fmac_f32_e32 v2, 0x3f167918, v9
	v_fmac_f32_e32 v10, 0xbf167918, v7
	v_add_f32_e32 v11, v3, v11
	v_add_f32_e32 v9, v14, v39
	v_fma_f32 v3, -0.5, v15, v27
	v_sub_f32_e32 v15, v36, v5
	v_fmac_f32_e32 v6, 0x3f167918, v7
	v_add_f32_e32 v7, v37, v12
	v_mul_f32_e32 v31, v85, v19
	v_fmac_f32_e32 v4, 0x3e9e377a, v13
	v_fmac_f32_e32 v2, 0x3e9e377a, v13
	v_add_f32_e32 v9, v9, v42
	v_fmamk_f32 v5, v15, 0x3f737871, v3
	v_sub_f32_e32 v13, v38, v40
	v_sub_f32_e32 v14, v37, v39
	;; [unrolled: 1-line block ×3, first 2 shown]
	v_fma_f32 v7, -0.5, v7, v27
	v_fmac_f32_e32 v3, 0xbf737871, v15
	v_add_f32_e32 v19, v28, v41
	v_fmac_f32_e32 v31, v84, v18
	v_fmac_f32_e32 v51, v76, v32
	;; [unrolled: 1-line block ×4, first 2 shown]
	v_add_f32_e32 v9, v9, v12
	v_fmac_f32_e32 v5, 0x3f167918, v13
	v_add_f32_e32 v14, v14, v16
	v_fmamk_f32 v11, v13, 0xbf737871, v7
	v_sub_f32_e32 v16, v39, v37
	v_sub_f32_e32 v12, v42, v12
	v_add_f32_e32 v18, v17, v44
	v_fmac_f32_e32 v3, 0xbf167918, v13
	v_fmac_f32_e32 v7, 0x3f737871, v13
	v_add_f32_e32 v13, v19, v17
	v_add_f32_e32 v32, v41, v45
	v_mul_f32_e32 v52, v79, v35
	v_fmac_f32_e32 v11, 0x3f167918, v15
	v_add_f32_e32 v16, v16, v12
	v_fma_f32 v12, -0.5, v18, v28
	v_sub_f32_e32 v26, v43, v48
	v_sub_f32_e32 v19, v46, v30
	;; [unrolled: 1-line block ×4, first 2 shown]
	v_fmac_f32_e32 v7, 0xbf167918, v15
	v_add_f32_e32 v13, v13, v44
	v_fma_f32 v28, -0.5, v32, v28
	v_fmac_f32_e32 v52, v78, v34
	v_fmac_f32_e32 v5, 0x3e9e377a, v14
	v_fmac_f32_e32 v3, 0x3e9e377a, v14
	v_fmac_f32_e32 v11, 0x3e9e377a, v16
	v_fmamk_f32 v14, v26, 0xbf737871, v12
	v_add_f32_e32 v15, v18, v27
	v_fmac_f32_e32 v7, 0x3e9e377a, v16
	v_add_f32_e32 v16, v13, v45
	v_fmac_f32_e32 v12, 0x3f737871, v26
	v_fmamk_f32 v18, v19, 0x3f737871, v28
	v_sub_f32_e32 v13, v17, v41
	v_sub_f32_e32 v27, v44, v45
	v_add_f32_e32 v32, v29, v43
	v_add_f32_e32 v34, v46, v30
	v_fmac_f32_e32 v28, 0xbf737871, v19
	v_fmac_f32_e32 v14, 0xbf167918, v19
	;; [unrolled: 1-line block ×4, first 2 shown]
	v_add_f32_e32 v27, v13, v27
	v_add_f32_e32 v19, v32, v46
	v_fma_f32 v13, -0.5, v34, v29
	v_sub_f32_e32 v32, v41, v45
	v_fmac_f32_e32 v28, 0x3f167918, v26
	v_add_f32_e32 v26, v43, v48
	v_sub_f32_e32 v35, v43, v46
	v_sub_f32_e32 v36, v48, v30
	v_fmac_f32_e32 v14, 0x3e9e377a, v15
	v_fmac_f32_e32 v12, 0x3e9e377a, v15
	v_fmac_f32_e32 v18, 0x3e9e377a, v27
	v_add_f32_e32 v19, v19, v30
	v_fmamk_f32 v15, v32, 0x3f737871, v13
	v_sub_f32_e32 v34, v17, v44
	v_fmac_f32_e32 v28, 0x3e9e377a, v27
	v_fmac_f32_e32 v29, -0.5, v26
	v_add_f32_e32 v27, v35, v36
	v_fmac_f32_e32 v13, 0xbf737871, v32
	v_sub_f32_e32 v26, v46, v43
	v_sub_f32_e32 v30, v30, v48
	v_add_f32_e32 v35, v47, v51
	v_add_f32_e32 v17, v19, v48
	v_fmac_f32_e32 v15, 0x3f167918, v34
	v_fmamk_f32 v19, v34, 0xbf737871, v29
	v_fmac_f32_e32 v13, 0xbf167918, v34
	v_add_f32_e32 v36, v26, v30
	v_fmac_f32_e32 v29, 0x3f737871, v34
	v_add_f32_e32 v30, v0, v31
	v_fma_f32 v26, -0.5, v35, v0
	v_sub_f32_e32 v35, v49, v53
	v_fmac_f32_e32 v15, 0x3e9e377a, v27
	v_fmac_f32_e32 v19, 0x3f167918, v32
	;; [unrolled: 1-line block ×4, first 2 shown]
	v_add_f32_e32 v27, v30, v47
	v_fmamk_f32 v30, v35, 0xbf737871, v26
	v_sub_f32_e32 v37, v50, v33
	v_sub_f32_e32 v32, v31, v47
	v_sub_f32_e32 v34, v52, v51
	v_fmac_f32_e32 v26, 0x3f737871, v35
	v_add_f32_e32 v38, v31, v52
	v_fmac_f32_e32 v30, 0xbf167918, v37
	v_add_f32_e32 v27, v27, v51
	v_add_f32_e32 v34, v32, v34
	v_fmac_f32_e32 v26, 0x3f167918, v37
	v_fma_f32 v0, -0.5, v38, v0
	v_fmac_f32_e32 v19, 0x3e9e377a, v36
	v_fmac_f32_e32 v29, 0x3e9e377a, v36
	;; [unrolled: 1-line block ×4, first 2 shown]
	v_fmamk_f32 v34, v37, 0x3f737871, v0
	v_fmac_f32_e32 v0, 0xbf737871, v37
	v_add_f32_e32 v37, v1, v49
	v_add_f32_e32 v32, v27, v52
	;; [unrolled: 1-line block ×3, first 2 shown]
	v_sub_f32_e32 v36, v47, v31
	v_sub_f32_e32 v38, v51, v52
	v_fmac_f32_e32 v34, 0xbf167918, v35
	v_fmac_f32_e32 v0, 0x3f167918, v35
	v_add_f32_e32 v35, v37, v50
	v_add_f32_e32 v37, v49, v53
	v_fma_f32 v27, -0.5, v27, v1
	v_sub_f32_e32 v39, v31, v52
	v_add_f32_e32 v36, v36, v38
	v_sub_f32_e32 v38, v47, v51
	v_fmac_f32_e32 v1, -0.5, v37
	v_sub_f32_e32 v37, v49, v50
	v_fmamk_f32 v31, v39, 0x3f737871, v27
	v_fmac_f32_e32 v34, 0x3e9e377a, v36
	v_fmac_f32_e32 v0, 0x3e9e377a, v36
	v_add_f32_e32 v36, v35, v33
	v_sub_f32_e32 v40, v53, v33
	v_fmac_f32_e32 v27, 0xbf737871, v39
	v_fmamk_f32 v35, v38, 0xbf737871, v1
	v_sub_f32_e32 v41, v50, v49
	v_sub_f32_e32 v33, v33, v53
	v_fmac_f32_e32 v1, 0x3f737871, v38
	v_fmac_f32_e32 v31, 0x3f167918, v38
	v_add_f32_e32 v37, v37, v40
	v_fmac_f32_e32 v27, 0xbf167918, v38
	v_add_f32_e32 v38, v41, v33
	v_fmac_f32_e32 v1, 0xbf167918, v39
	v_fmac_f32_e32 v35, 0x3f167918, v39
	v_add_f32_e32 v33, v36, v53
	v_fmac_f32_e32 v31, 0x3e9e377a, v37
	v_fmac_f32_e32 v27, 0x3e9e377a, v37
	;; [unrolled: 1-line block ×4, first 2 shown]
	ds_write2_b64 v173, v[8:9], v[16:17] offset1:117
	ds_write2_b64 v22, v[10:11], v[18:19] offset0:62 offset1:179
	ds_write2_b64 v24, v[2:3], v[12:13] offset0:124 offset1:241
	;; [unrolled: 1-line block ×6, first 2 shown]
	ds_write_b64 v173, v[26:27] offset:13104
	s_waitcnt lgkmcnt(0)
	s_barrier
	buffer_gl0_inv
	ds_read2_b64 v[0:3], v173 offset1:135
	v_add_nc_u32_e32 v6, 0x800, v173
	v_mad_u64_u32 v[14:15], null, s8, v174, 0
	v_mad_u64_u32 v[12:13], null, s10, v142, 0
	s_waitcnt lgkmcnt(0)
	v_mul_f32_e32 v4, v156, v1
	v_mul_f32_e32 v5, v156, v0
	;; [unrolled: 1-line block ×4, first 2 shown]
	v_fmac_f32_e32 v4, v155, v0
	v_fma_f32 v8, v155, v1, -v5
	v_fmac_f32_e32 v10, v157, v2
	v_fma_f32 v11, v157, v3, -v11
	v_cvt_f64_f32_e32 v[0:1], v4
	ds_read2_b64 v[4:7], v6 offset0:14 offset1:149
	v_cvt_f64_f32_e32 v[2:3], v10
	v_cvt_f64_f32_e32 v[10:11], v11
	;; [unrolled: 1-line block ×3, first 2 shown]
	s_waitcnt lgkmcnt(0)
	v_mul_f32_e32 v25, v168, v5
	v_mul_f64 v[16:17], v[0:1], s[4:5]
	v_mul_f32_e32 v1, v168, v4
	v_mov_b32_e32 v0, v15
	v_mul_f64 v[18:19], v[2:3], s[4:5]
	v_fmac_f32_e32 v25, v167, v4
	v_add_nc_u32_e32 v2, 0x1000, v173
	v_fma_f32 v1, v167, v5, -v1
	v_mul_f64 v[10:11], v[10:11], s[4:5]
	v_mul_f64 v[8:9], v[8:9], s[4:5]
	v_cvt_f64_f32_e32 v[25:26], v25
	v_mad_u64_u32 v[4:5], null, s11, v142, v[13:14]
	v_mad_u64_u32 v[27:28], null, s9, v174, v[0:1]
	v_cvt_f64_f32_e32 v[28:29], v1
	ds_read2_b64 v[0:3], v2 offset0:28 offset1:163
	v_mov_b32_e32 v13, v4
	v_mov_b32_e32 v15, v27
	v_cvt_f32_f64_e32 v16, v[16:17]
	v_lshlrev_b64 v[4:5], 3, v[12:13]
	v_cvt_f32_f64_e32 v12, v[18:19]
	v_mul_f32_e32 v18, v166, v7
	v_mul_f32_e32 v19, v166, v6
	v_cvt_f32_f64_e32 v13, v[10:11]
	v_cvt_f32_f64_e32 v17, v[8:9]
	v_mul_f64 v[10:11], v[25:26], s[4:5]
	v_fmac_f32_e32 v18, v165, v6
	v_fma_f32 v6, v165, v7, -v19
	v_lshlrev_b64 v[8:9], 3, v[14:15]
	s_waitcnt lgkmcnt(0)
	v_mul_f32_e32 v25, v164, v1
	v_mul_f32_e32 v26, v164, v0
	v_mul_f64 v[14:15], v[28:29], s[4:5]
	v_add_co_u32 v29, s0, s2, v4
	v_fmac_f32_e32 v25, v163, v0
	v_fma_f32 v7, v163, v1, -v26
	v_cvt_f64_f32_e32 v[0:1], v18
	v_cvt_f64_f32_e32 v[18:19], v6
	v_add_nc_u32_e32 v6, 0x1800, v173
	v_cvt_f64_f32_e32 v[25:26], v25
	v_cvt_f64_f32_e32 v[27:28], v7
	v_add_co_ci_u32_e64 v30, s0, s3, v5, s0
	ds_read2_b64 v[4:7], v6 offset0:42 offset1:177
	v_add_co_u32 v8, s0, v29, v8
	s_add_i32 s3, s6, s1
	s_mul_i32 s2, s8, 0x87
	v_add_co_ci_u32_e64 v9, s0, v30, v9, s0
	s_lshl_b64 s[2:3], s[2:3], 3
	v_cvt_f32_f64_e32 v10, v[10:11]
	v_mul_f32_e32 v29, v160, v3
	v_cvt_f32_f64_e32 v11, v[14:15]
	v_add_co_u32 v14, s0, v8, s2
	v_add_co_ci_u32_e64 v15, s0, s3, v9, s0
	v_mul_f64 v[0:1], v[0:1], s[4:5]
	global_store_dwordx2 v[8:9], v[16:17], off
	v_fmac_f32_e32 v29, v159, v2
	global_store_dwordx2 v[14:15], v[12:13], off
	v_mul_f64 v[12:13], v[25:26], s[4:5]
	v_mul_f32_e32 v2, v160, v2
	s_waitcnt lgkmcnt(0)
	v_mul_f32_e32 v25, v162, v5
	v_mul_f32_e32 v26, v162, v4
	v_mul_f64 v[8:9], v[18:19], s[4:5]
	v_mul_f64 v[16:17], v[27:28], s[4:5]
	v_fma_f32 v2, v159, v3, -v2
	v_fmac_f32_e32 v25, v161, v4
	v_fma_f32 v3, v161, v5, -v26
	v_add_co_u32 v14, s0, v14, s2
	v_cvt_f64_f32_e32 v[4:5], v2
	v_cvt_f64_f32_e32 v[25:26], v25
	;; [unrolled: 1-line block ×3, first 2 shown]
	v_add_nc_u32_e32 v2, 0x2000, v173
	v_add_co_ci_u32_e64 v15, s0, s3, v15, s0
	v_cvt_f64_f32_e32 v[18:19], v29
	v_cvt_f32_f64_e32 v29, v[0:1]
	ds_read2_b64 v[0:3], v2 offset0:56 offset1:191
	v_mul_f32_e32 v31, v154, v7
	global_store_dwordx2 v[14:15], v[10:11], off
	v_cvt_f32_f64_e32 v12, v[12:13]
	v_add_co_u32 v14, s0, v14, s2
	v_fmac_f32_e32 v31, v153, v6
	v_cvt_f32_f64_e32 v30, v[8:9]
	ds_read2_b64 v[8:11], v24 offset0:70 offset1:205
	v_mul_f32_e32 v24, v154, v6
	v_cvt_f32_f64_e32 v13, v[16:17]
	v_add_co_ci_u32_e64 v15, s0, s3, v15, s0
	v_add_co_u32 v16, s0, v14, s2
	v_fma_f32 v33, v153, v7, -v24
	v_mul_f64 v[6:7], v[25:26], s[4:5]
	v_mul_f64 v[24:25], v[27:28], s[4:5]
	v_cvt_f64_f32_e32 v[26:27], v31
	ds_read_b64 v[31:32], v173 offset:12960
	s_waitcnt lgkmcnt(2)
	v_mul_f32_e32 v28, v148, v1
	v_mul_f32_e32 v35, v148, v0
	v_mul_f64 v[4:5], v[4:5], s[4:5]
	v_cvt_f64_f32_e32 v[33:34], v33
	v_mul_f32_e32 v36, v146, v3
	v_fmac_f32_e32 v28, v147, v0
	v_mul_f32_e32 v37, v146, v2
	v_fma_f32 v35, v147, v1, -v35
	s_waitcnt lgkmcnt(1)
	v_mul_f32_e32 v39, v144, v9
	v_mul_f32_e32 v41, v150, v10
	v_cvt_f64_f32_e32 v[0:1], v28
	v_mul_f32_e32 v28, v150, v11
	v_fmac_f32_e32 v36, v145, v2
	v_fmac_f32_e32 v39, v143, v8
	v_mul_f32_e32 v8, v144, v8
	v_fma_f32 v37, v145, v3, -v37
	v_cvt_f64_f32_e32 v[2:3], v35
	v_fmac_f32_e32 v28, v149, v10
	v_fma_f32 v41, v149, v11, -v41
	s_waitcnt lgkmcnt(0)
	v_mul_f32_e32 v42, v152, v32
	v_mul_f32_e32 v43, v152, v31
	v_fma_f32 v8, v143, v9, -v8
	v_mul_f64 v[18:19], v[18:19], s[4:5]
	v_cvt_f64_f32_e32 v[35:36], v36
	v_fmac_f32_e32 v42, v151, v31
	v_fma_f32 v43, v151, v32, -v43
	v_cvt_f64_f32_e32 v[37:38], v37
	v_cvt_f64_f32_e32 v[39:40], v39
	;; [unrolled: 1-line block ×7, first 2 shown]
	v_add_co_ci_u32_e64 v17, s0, s3, v15, s0
	global_store_dwordx2 v[14:15], v[29:30], off
	global_store_dwordx2 v[16:17], v[12:13], off
	v_cvt_f32_f64_e32 v13, v[4:5]
	v_mul_f64 v[4:5], v[26:27], s[4:5]
	v_mul_f64 v[14:15], v[33:34], s[4:5]
	v_mul_f64 v[2:3], v[2:3], s[4:5]
	v_mul_f64 v[0:1], v[0:1], s[4:5]
	v_cvt_f32_f64_e32 v6, v[6:7]
	v_cvt_f32_f64_e32 v12, v[18:19]
	;; [unrolled: 1-line block ×3, first 2 shown]
	v_mul_f64 v[18:19], v[35:36], s[4:5]
	v_add_co_u32 v16, s0, v16, s2
	v_mul_f64 v[24:25], v[37:38], s[4:5]
	v_mul_f64 v[26:27], v[39:40], s[4:5]
	;; [unrolled: 1-line block ×5, first 2 shown]
	v_add_co_ci_u32_e64 v17, s0, s3, v17, s0
	v_mul_f64 v[30:31], v[41:42], s[4:5]
	v_mul_f64 v[32:33], v[43:44], s[4:5]
	v_add_co_u32 v34, s0, v16, s2
	v_add_co_ci_u32_e64 v35, s0, s3, v17, s0
	v_cvt_f32_f64_e32 v4, v[4:5]
	v_cvt_f32_f64_e32 v5, v[14:15]
	v_add_co_u32 v14, s0, v34, s2
	v_add_co_ci_u32_e64 v15, s0, s3, v35, s0
	v_cvt_f32_f64_e32 v37, v[2:3]
	v_add_co_u32 v2, s0, v14, s2
	v_add_co_ci_u32_e64 v3, s0, s3, v15, s0
	v_cvt_f32_f64_e32 v36, v[0:1]
	v_cvt_f32_f64_e32 v18, v[18:19]
	;; [unrolled: 1-line block ×4, first 2 shown]
	v_add_co_u32 v26, s0, v2, s2
	v_cvt_f32_f64_e32 v25, v[8:9]
	v_add_co_ci_u32_e64 v27, s0, s3, v3, s0
	v_cvt_f32_f64_e32 v8, v[10:11]
	v_cvt_f32_f64_e32 v9, v[28:29]
	;; [unrolled: 1-line block ×4, first 2 shown]
	global_store_dwordx2 v[16:17], v[12:13], off
	v_add_co_u32 v12, s0, v26, s2
	v_add_co_ci_u32_e64 v13, s0, s3, v27, s0
	global_store_dwordx2 v[34:35], v[6:7], off
	v_add_co_u32 v6, s0, v12, s2
	v_add_co_ci_u32_e64 v7, s0, s3, v13, s0
	;; [unrolled: 3-line block ×3, first 2 shown]
	global_store_dwordx2 v[2:3], v[36:37], off
	global_store_dwordx2 v[26:27], v[18:19], off
	;; [unrolled: 1-line block ×5, first 2 shown]
	s_and_b32 exec_lo, exec_lo, vcc_lo
	s_cbranch_execz .LBB0_15
; %bb.14:
	global_load_dwordx2 v[6:7], v[138:139], off offset:936
	ds_read2_b64 v[2:5], v173 offset0:117 offset1:252
	v_mad_u64_u32 v[0:1], null, 0xffffd108, s8, v[0:1]
	s_mul_i32 s0, s9, 0xffffd108
	s_sub_i32 s0, s0, s8
	v_add_nc_u32_e32 v1, s0, v1
	s_waitcnt vmcnt(0) lgkmcnt(0)
	v_mul_f32_e32 v8, v3, v7
	v_mul_f32_e32 v7, v2, v7
	v_fmac_f32_e32 v8, v2, v6
	v_fma_f32 v6, v6, v3, -v7
	v_cvt_f64_f32_e32 v[2:3], v8
	v_cvt_f64_f32_e32 v[6:7], v6
	v_mul_f64 v[2:3], v[2:3], s[4:5]
	v_mul_f64 v[6:7], v[6:7], s[4:5]
	v_cvt_f32_f64_e32 v2, v[2:3]
	v_cvt_f32_f64_e32 v3, v[6:7]
	global_store_dwordx2 v[0:1], v[2:3], off
	global_load_dwordx2 v[2:3], v[138:139], off offset:2016
	s_waitcnt vmcnt(0)
	v_mul_f32_e32 v6, v5, v3
	v_mul_f32_e32 v3, v4, v3
	v_fmac_f32_e32 v6, v4, v2
	v_fma_f32 v4, v2, v5, -v3
	v_cvt_f64_f32_e32 v[2:3], v6
	v_cvt_f64_f32_e32 v[4:5], v4
	v_mul_f64 v[2:3], v[2:3], s[4:5]
	v_mul_f64 v[4:5], v[4:5], s[4:5]
	v_cvt_f32_f64_e32 v2, v[2:3]
	v_cvt_f32_f64_e32 v3, v[4:5]
	v_add_co_u32 v4, vcc_lo, v0, s2
	v_add_co_ci_u32_e32 v5, vcc_lo, s3, v1, vcc_lo
	global_store_dwordx2 v[4:5], v[2:3], off
	global_load_dwordx2 v[6:7], v[140:141], off offset:1048
	ds_read2_b64 v[0:3], v23 offset0:3 offset1:138
	v_add_co_u32 v4, vcc_lo, v4, s2
	v_add_co_ci_u32_e32 v5, vcc_lo, s3, v5, vcc_lo
	s_waitcnt vmcnt(0) lgkmcnt(0)
	v_mul_f32_e32 v8, v1, v7
	v_mul_f32_e32 v7, v0, v7
	v_fmac_f32_e32 v8, v0, v6
	v_fma_f32 v6, v6, v1, -v7
	v_cvt_f64_f32_e32 v[0:1], v8
	v_cvt_f64_f32_e32 v[6:7], v6
	v_mul_f64 v[0:1], v[0:1], s[4:5]
	v_mul_f64 v[6:7], v[6:7], s[4:5]
	v_cvt_f32_f64_e32 v0, v[0:1]
	v_cvt_f32_f64_e32 v1, v[6:7]
	global_store_dwordx2 v[4:5], v[0:1], off
	global_load_dwordx2 v[0:1], v[136:137], off offset:80
	v_add_co_u32 v4, vcc_lo, v4, s2
	v_add_co_ci_u32_e32 v5, vcc_lo, s3, v5, vcc_lo
	s_waitcnt vmcnt(0)
	v_mul_f32_e32 v6, v3, v1
	v_mul_f32_e32 v1, v2, v1
	v_fmac_f32_e32 v6, v2, v0
	v_fma_f32 v2, v0, v3, -v1
	v_cvt_f64_f32_e32 v[0:1], v6
	v_cvt_f64_f32_e32 v[2:3], v2
	v_mul_f64 v[0:1], v[0:1], s[4:5]
	v_mul_f64 v[2:3], v[2:3], s[4:5]
	v_cvt_f32_f64_e32 v0, v[0:1]
	v_cvt_f32_f64_e32 v1, v[2:3]
	global_store_dwordx2 v[4:5], v[0:1], off
	global_load_dwordx2 v[6:7], v[136:137], off offset:1160
	ds_read2_b64 v[0:3], v22 offset0:17 offset1:152
	v_add_co_u32 v4, vcc_lo, v4, s2
	v_add_co_ci_u32_e32 v5, vcc_lo, s3, v5, vcc_lo
	s_waitcnt vmcnt(0) lgkmcnt(0)
	v_mul_f32_e32 v8, v1, v7
	v_mul_f32_e32 v7, v0, v7
	v_fmac_f32_e32 v8, v0, v6
	v_fma_f32 v6, v6, v1, -v7
	v_cvt_f64_f32_e32 v[0:1], v8
	v_cvt_f64_f32_e32 v[6:7], v6
	v_mul_f64 v[0:1], v[0:1], s[4:5]
	v_mul_f64 v[6:7], v[6:7], s[4:5]
	v_cvt_f32_f64_e32 v0, v[0:1]
	v_cvt_f32_f64_e32 v1, v[6:7]
	global_store_dwordx2 v[4:5], v[0:1], off
	global_load_dwordx2 v[0:1], v[134:135], off offset:192
	v_add_co_u32 v4, vcc_lo, v4, s2
	v_add_co_ci_u32_e32 v5, vcc_lo, s3, v5, vcc_lo
	s_waitcnt vmcnt(0)
	v_mul_f32_e32 v6, v3, v1
	v_mul_f32_e32 v1, v2, v1
	v_fmac_f32_e32 v6, v2, v0
	v_fma_f32 v2, v0, v3, -v1
	v_cvt_f64_f32_e32 v[0:1], v6
	v_cvt_f64_f32_e32 v[2:3], v2
	v_mul_f64 v[0:1], v[0:1], s[4:5]
	v_mul_f64 v[2:3], v[2:3], s[4:5]
	v_cvt_f32_f64_e32 v0, v[0:1]
	v_cvt_f32_f64_e32 v1, v[2:3]
	;; [unrolled: 31-line block ×4, first 2 shown]
	global_store_dwordx2 v[4:5], v[0:1], off
	global_load_dwordx2 v[6:7], v[130:131], off offset:1496
	v_add_nc_u32_e32 v0, 0x2c00, v173
	v_add_co_u32 v4, vcc_lo, v4, s2
	v_add_co_ci_u32_e32 v5, vcc_lo, s3, v5, vcc_lo
	ds_read2_b64 v[0:3], v0 offset0:59 offset1:194
	s_waitcnt vmcnt(0) lgkmcnt(0)
	v_mul_f32_e32 v8, v1, v7
	v_mul_f32_e32 v7, v0, v7
	v_fmac_f32_e32 v8, v0, v6
	v_fma_f32 v6, v6, v1, -v7
	v_cvt_f64_f32_e32 v[0:1], v8
	v_cvt_f64_f32_e32 v[6:7], v6
	v_mul_f64 v[0:1], v[0:1], s[4:5]
	v_mul_f64 v[6:7], v[6:7], s[4:5]
	v_cvt_f32_f64_e32 v0, v[0:1]
	v_cvt_f32_f64_e32 v1, v[6:7]
	global_store_dwordx2 v[4:5], v[0:1], off
	global_load_dwordx2 v[0:1], v[128:129], off offset:528
	s_waitcnt vmcnt(0)
	v_mul_f32_e32 v6, v3, v1
	v_mul_f32_e32 v1, v2, v1
	v_fmac_f32_e32 v6, v2, v0
	v_fma_f32 v2, v0, v3, -v1
	v_cvt_f64_f32_e32 v[0:1], v6
	v_cvt_f64_f32_e32 v[2:3], v2
	v_mul_f64 v[0:1], v[0:1], s[4:5]
	v_mul_f64 v[2:3], v[2:3], s[4:5]
	v_cvt_f32_f64_e32 v0, v[0:1]
	v_cvt_f32_f64_e32 v1, v[2:3]
	v_add_co_u32 v2, vcc_lo, v4, s2
	v_add_co_ci_u32_e32 v3, vcc_lo, s3, v5, vcc_lo
	ds_read_b64 v[4:5], v173 offset:13896
	global_store_dwordx2 v[2:3], v[0:1], off
	global_load_dwordx2 v[0:1], v[128:129], off offset:1608
	v_add_co_u32 v2, vcc_lo, v2, s2
	v_add_co_ci_u32_e32 v3, vcc_lo, s3, v3, vcc_lo
	s_waitcnt vmcnt(0) lgkmcnt(0)
	v_mul_f32_e32 v6, v5, v1
	v_mul_f32_e32 v1, v4, v1
	v_fmac_f32_e32 v6, v4, v0
	v_fma_f32 v4, v0, v5, -v1
	v_cvt_f64_f32_e32 v[0:1], v6
	v_cvt_f64_f32_e32 v[4:5], v4
	v_mul_f64 v[0:1], v[0:1], s[4:5]
	v_mul_f64 v[4:5], v[4:5], s[4:5]
	v_cvt_f32_f64_e32 v0, v[0:1]
	v_cvt_f32_f64_e32 v1, v[4:5]
	global_store_dwordx2 v[2:3], v[0:1], off
.LBB0_15:
	s_endpgm
	.section	.rodata,"a",@progbits
	.p2align	6, 0x0
	.amdhsa_kernel bluestein_single_fwd_len1755_dim1_sp_op_CI_CI
		.amdhsa_group_segment_fixed_size 14040
		.amdhsa_private_segment_fixed_size 0
		.amdhsa_kernarg_size 104
		.amdhsa_user_sgpr_count 6
		.amdhsa_user_sgpr_private_segment_buffer 1
		.amdhsa_user_sgpr_dispatch_ptr 0
		.amdhsa_user_sgpr_queue_ptr 0
		.amdhsa_user_sgpr_kernarg_segment_ptr 1
		.amdhsa_user_sgpr_dispatch_id 0
		.amdhsa_user_sgpr_flat_scratch_init 0
		.amdhsa_user_sgpr_private_segment_size 0
		.amdhsa_wavefront_size32 1
		.amdhsa_uses_dynamic_stack 0
		.amdhsa_system_sgpr_private_segment_wavefront_offset 0
		.amdhsa_system_sgpr_workgroup_id_x 1
		.amdhsa_system_sgpr_workgroup_id_y 0
		.amdhsa_system_sgpr_workgroup_id_z 0
		.amdhsa_system_sgpr_workgroup_info 0
		.amdhsa_system_vgpr_workitem_id 0
		.amdhsa_next_free_vgpr 252
		.amdhsa_next_free_sgpr 16
		.amdhsa_reserve_vcc 1
		.amdhsa_reserve_flat_scratch 0
		.amdhsa_float_round_mode_32 0
		.amdhsa_float_round_mode_16_64 0
		.amdhsa_float_denorm_mode_32 3
		.amdhsa_float_denorm_mode_16_64 3
		.amdhsa_dx10_clamp 1
		.amdhsa_ieee_mode 1
		.amdhsa_fp16_overflow 0
		.amdhsa_workgroup_processor_mode 1
		.amdhsa_memory_ordered 1
		.amdhsa_forward_progress 0
		.amdhsa_shared_vgpr_count 0
		.amdhsa_exception_fp_ieee_invalid_op 0
		.amdhsa_exception_fp_denorm_src 0
		.amdhsa_exception_fp_ieee_div_zero 0
		.amdhsa_exception_fp_ieee_overflow 0
		.amdhsa_exception_fp_ieee_underflow 0
		.amdhsa_exception_fp_ieee_inexact 0
		.amdhsa_exception_int_div_zero 0
	.end_amdhsa_kernel
	.text
.Lfunc_end0:
	.size	bluestein_single_fwd_len1755_dim1_sp_op_CI_CI, .Lfunc_end0-bluestein_single_fwd_len1755_dim1_sp_op_CI_CI
                                        ; -- End function
	.section	.AMDGPU.csdata,"",@progbits
; Kernel info:
; codeLenInByte = 26496
; NumSgprs: 18
; NumVgprs: 252
; ScratchSize: 0
; MemoryBound: 0
; FloatMode: 240
; IeeeMode: 1
; LDSByteSize: 14040 bytes/workgroup (compile time only)
; SGPRBlocks: 2
; VGPRBlocks: 31
; NumSGPRsForWavesPerEU: 18
; NumVGPRsForWavesPerEU: 252
; Occupancy: 4
; WaveLimiterHint : 1
; COMPUTE_PGM_RSRC2:SCRATCH_EN: 0
; COMPUTE_PGM_RSRC2:USER_SGPR: 6
; COMPUTE_PGM_RSRC2:TRAP_HANDLER: 0
; COMPUTE_PGM_RSRC2:TGID_X_EN: 1
; COMPUTE_PGM_RSRC2:TGID_Y_EN: 0
; COMPUTE_PGM_RSRC2:TGID_Z_EN: 0
; COMPUTE_PGM_RSRC2:TIDIG_COMP_CNT: 0
	.text
	.p2alignl 6, 3214868480
	.fill 48, 4, 3214868480
	.type	__hip_cuid_d8a5dbe250cccaf2,@object ; @__hip_cuid_d8a5dbe250cccaf2
	.section	.bss,"aw",@nobits
	.globl	__hip_cuid_d8a5dbe250cccaf2
__hip_cuid_d8a5dbe250cccaf2:
	.byte	0                               ; 0x0
	.size	__hip_cuid_d8a5dbe250cccaf2, 1

	.ident	"AMD clang version 19.0.0git (https://github.com/RadeonOpenCompute/llvm-project roc-6.4.0 25133 c7fe45cf4b819c5991fe208aaa96edf142730f1d)"
	.section	".note.GNU-stack","",@progbits
	.addrsig
	.addrsig_sym __hip_cuid_d8a5dbe250cccaf2
	.amdgpu_metadata
---
amdhsa.kernels:
  - .args:
      - .actual_access:  read_only
        .address_space:  global
        .offset:         0
        .size:           8
        .value_kind:     global_buffer
      - .actual_access:  read_only
        .address_space:  global
        .offset:         8
        .size:           8
        .value_kind:     global_buffer
      - .actual_access:  read_only
        .address_space:  global
        .offset:         16
        .size:           8
        .value_kind:     global_buffer
      - .actual_access:  read_only
        .address_space:  global
        .offset:         24
        .size:           8
        .value_kind:     global_buffer
      - .actual_access:  read_only
        .address_space:  global
        .offset:         32
        .size:           8
        .value_kind:     global_buffer
      - .offset:         40
        .size:           8
        .value_kind:     by_value
      - .address_space:  global
        .offset:         48
        .size:           8
        .value_kind:     global_buffer
      - .address_space:  global
        .offset:         56
        .size:           8
        .value_kind:     global_buffer
      - .address_space:  global
        .offset:         64
        .size:           8
        .value_kind:     global_buffer
      - .address_space:  global
        .offset:         72
        .size:           8
        .value_kind:     global_buffer
      - .offset:         80
        .size:           4
        .value_kind:     by_value
      - .address_space:  global
        .offset:         88
        .size:           8
        .value_kind:     global_buffer
      - .address_space:  global
        .offset:         96
        .size:           8
        .value_kind:     global_buffer
    .group_segment_fixed_size: 14040
    .kernarg_segment_align: 8
    .kernarg_segment_size: 104
    .language:       OpenCL C
    .language_version:
      - 2
      - 0
    .max_flat_workgroup_size: 117
    .name:           bluestein_single_fwd_len1755_dim1_sp_op_CI_CI
    .private_segment_fixed_size: 0
    .sgpr_count:     18
    .sgpr_spill_count: 0
    .symbol:         bluestein_single_fwd_len1755_dim1_sp_op_CI_CI.kd
    .uniform_work_group_size: 1
    .uses_dynamic_stack: false
    .vgpr_count:     252
    .vgpr_spill_count: 0
    .wavefront_size: 32
    .workgroup_processor_mode: 1
amdhsa.target:   amdgcn-amd-amdhsa--gfx1030
amdhsa.version:
  - 1
  - 2
...

	.end_amdgpu_metadata
